;; amdgpu-corpus repo=ROCm/aiter kind=harvested arch=n/a opt=n/a

/root/src/amdgpu-assembly/repos/ROCm__aiter/hsa/gfx950/mla/mla_a16w16_qh64_qseqlen1_gqaratio64_lse_v3_ps.co:	file format elf64-amdgpu

Disassembly of section .text:

0000000000002500 <_ZN5aiter45mla_a16w16_qh64_qseqlen1_gqaratio64_lse_v3_psE>:
	s_and_b32 s1, s1, 0xffff                                   // 000000002500: 8601FF01 0000FFFF
	s_load_dwordx2 s[28:29], s[0:1], 0xe0                      // 000000002508: C0060700 000000E0
	v_lshrrev_b32_e32 v1, 10, v0                               // 000000002510: 2002008A
	v_lshrrev_b32_e32 v2, 10, v1                               // 000000002514: 2004028A
	v_and_b32_e32 v2, 0x3ff, v2                                // 000000002518: 260404FF 000003FF
	v_and_b32_e32 v1, 0x3ff, v1                                // 000000002520: 260202FF 000003FF
	v_and_b32_e32 v0, 0x3ff, v0                                // 000000002528: 260000FF 000003FF
	v_lshrrev_b32_e32 v3, 6, v0                                // 000000002530: 20060086
	v_and_b32_e32 v0, 63, v0                                   // 000000002534: 260000BF
	s_mov_b32 s2, s2                                           // 000000002538: BE820002
	s_mov_b32 s3, s3                                           // 00000000253C: BE830003
	s_mov_b32 s4, s4                                           // 000000002540: BE840004
	v_readfirstlane_b32 s7, v3                                 // 000000002544: 7E0E0503
	s_waitcnt lgkmcnt(0)                                       // 000000002548: BF8CC07F
	s_and_b32 s29, s29, 0xffff                                 // 00000000254C: 861DFF1D 0000FFFF
	s_load_dwordx2 s[32:33], s[28:29], 0x0                     // 000000002554: C006080E 00000000
	s_load_dwordx2 s[30:31], s[28:29], 0x8                     // 00000000255C: C006078E 00000008
	s_waitcnt lgkmcnt(0)                                       // 000000002564: BF8CC07F
	s_mul_i32 s56, s2, 4                                       // 000000002568: 92388402
	s_and_b32 s33, s33, 0xffff                                 // 00000000256C: 8621FF21 0000FFFF
	s_add_u32 s32, s56, s32                                    // 000000002574: 80202038
	s_addc_u32 s33, 0, s33                                     // 000000002578: 82212180
	s_load_dword s85, s[32:33], 0x0                            // 00000000257C: C0021550 00000000
	s_load_dword s86, s[32:33], 0x4                            // 000000002584: C0021590 00000004
	s_and_b32 s31, s31, 0xffff                                 // 00000000258C: 861FFF1F 0000FFFF
	s_waitcnt lgkmcnt(0)                                       // 000000002594: BF8CC07F
	s_cmp_eq_i32 s85, s86                                      // 000000002598: BF005655
	s_cbranch_scc1 label_C7D4                                  // 00000000259C: BF85314B
	s_mul_i32 s56, s85, 32                                     // 0000000025A0: 9238A055

00000000000025a4 <label_00A4>:
	s_waitcnt vmcnt(0) expcnt(0) lgkmcnt(0)                    // 0000000025A4: BF8C0000
	s_barrier                                                  // 0000000025A8: BF8A0000
	s_add_u32 s30, s56, s30                                    // 0000000025AC: 801E1E38
	s_addc_u32 s31, 0, s31                                     // 0000000025B0: 821F1F80
	s_load_dword s66, s[30:31], 0x0                            // 0000000025B4: C002108F 00000000
	s_load_dword s87, s[30:31], 0x4                            // 0000000025BC: C00215CF 00000004
	s_load_dword s79, s[30:31], 0x8                            // 0000000025C4: C00213CF 00000008
	s_load_dword s78, s[30:31], 0xc                            // 0000000025CC: C002138F 0000000C
	s_load_dword s47, s[30:31], 0x10                           // 0000000025D4: C0020BCF 00000010
	s_load_dword s46, s[30:31], 0x14                           // 0000000025DC: C0020B8F 00000014
	s_load_dword s62, s[30:31], 0x18                           // 0000000025E4: C0020F8F 00000018
	s_load_dwordx2 s[8:9], s[0:1], 0x0                         // 0000000025EC: C0060200 00000000
	s_load_dwordx2 s[12:13], s[0:1], 0x10                      // 0000000025F4: C0060300 00000010
	s_load_dwordx2 s[16:17], s[0:1], 0x20                      // 0000000025FC: C0060400 00000020
	s_load_dwordx2 s[20:21], s[0:1], 0x30                      // 000000002604: C0060500 00000030
	s_load_dwordx2 s[24:25], s[0:1], 0x50                      // 00000000260C: C0060600 00000050
	s_load_dword s64, s[0:1], 0x70                             // 000000002614: C0021000 00000070
	s_load_dword s92, s[0:1], 0x80                             // 00000000261C: C0021700 00000080
	s_load_dword s68, s[0:1], 0xb0                             // 000000002624: C0021100 000000B0
	s_load_dword s69, s[0:1], 0xc0                             // 00000000262C: C0021140 000000C0
	s_load_dwordx2 s[32:33], s[0:1], 0xd0                      // 000000002634: C0060800 000000D0
	s_load_dwordx2 s[88:89], s[0:1], 0xf0                      // 00000000263C: C0061600 000000F0
	s_load_dwordx2 s[96:97], s[0:1], 0x130                     // 000000002644: C0061800 00000130
	s_waitcnt lgkmcnt(0)                                       // 00000000264C: BF8CC07F
	s_mul_i32 s56, s66, 4                                      // 000000002650: 92388442
	s_add_u32 s32, s56, s32                                    // 000000002654: 80202038
	s_addc_u32 s33, 0, s33                                     // 000000002658: 82212180
	s_load_dword s66, s[32:33], 0x4                            // 00000000265C: C0021090 00000004
	s_waitcnt lgkmcnt(0)                                       // 000000002664: BF8CC07F
	s_mov_b32 s67, 1                                           // 000000002668: BEC30081
	s_sub_u32 s81, s78, s79                                    // 00000000266C: 80D14F4E
	s_mul_i32 s65, s92, s81                                    // 000000002670: 9241515C
	s_mul_i32 s75, 0x800, s65                                  // 000000002674: 924B41FF 00000800
	s_mul_i32 s74, 0x480, s65                                  // 00000000267C: 924A41FF 00000480
	s_mul_i32 s56, 4, s65                                      // 000000002684: 92384184
	s_mov_b32 s10, s75                                         // 000000002688: BE8A004B
	s_mov_b32 s18, s74                                         // 00000000268C: BE92004A
	s_mov_b32 s14, s56                                         // 000000002690: BE8E0038
	s_mov_b32 s98, s56                                         // 000000002694: BEE20038
	s_mov_b32 s22, -16                                         // 000000002698: BE9600D0
	s_mov_b32 s26, -16                                         // 00000000269C: BE9A00D0
	s_mov_b32 s90, -16                                         // 0000000026A0: BEDA00D0
	s_mov_b32 s11, 0x20000                                     // 0000000026A4: BE8B00FF 00020000
	s_mov_b32 s19, 0x20000                                     // 0000000026AC: BE9300FF 00020000
	s_mov_b32 s15, 0x20000                                     // 0000000026B4: BE8F00FF 00020000
	s_mov_b32 s99, 0x20000                                     // 0000000026BC: BEE300FF 00020000
	s_mov_b32 s23, 0x20000                                     // 0000000026C4: BE9700FF 00020000
	s_mov_b32 s27, 0x20000                                     // 0000000026CC: BE9B00FF 00020000
	s_mov_b32 s91, 0x20000                                     // 0000000026D4: BEDB00FF 00020000
	s_and_b32 s9, s9, 0xffff                                   // 0000000026DC: 8609FF09 0000FFFF
	s_and_b32 s17, s17, 0xffff                                 // 0000000026E4: 8611FF11 0000FFFF
	s_and_b32 s13, s13, 0xffff                                 // 0000000026EC: 860DFF0D 0000FFFF
	s_and_b32 s97, s97, 0xffff                                 // 0000000026F4: 8661FF61 0000FFFF
	s_and_b32 s21, s21, 0xffff                                 // 0000000026FC: 8615FF15 0000FFFF
	s_and_b32 s25, s25, 0xffff                                 // 000000002704: 8619FF19 0000FFFF
	s_and_b32 s89, s89, 0xffff                                 // 00000000270C: 8659FF59 0000FFFF
	s_or_b32 s9, s9, 0x40000                                   // 000000002714: 8709FF09 00040000
	s_or_b32 s17, s17, 0x40000                                 // 00000000271C: 8711FF11 00040000
	s_or_b32 s13, s13, 0x40000                                 // 000000002724: 870DFF0D 00040000
	s_or_b32 s97, s97, 0x40000                                 // 00000000272C: 8761FF61 00040000
	s_or_b32 s21, s21, 0x40000                                 // 000000002734: 8715FF15 00040000
	s_or_b32 s25, s25, 0x40000                                 // 00000000273C: 8719FF19 00040000
	s_or_b32 s89, s89, 0x40000                                 // 000000002744: 8759FF59 00040000
	s_waitcnt lgkmcnt(0)                                       // 00000000274C: BF8CC07F
	s_mov_b32 s69, 0                                           // 000000002750: BEC50080
	s_lshr_b32 s44, 32, s69                                    // 000000002754: 8F2C45A0
	s_mul_i32 s73, s44, 4                                      // 000000002758: 9249842C
	s_mul_i32 s73, s73, s67                                    // 00000000275C: 92494349
	s_mul_i32 s45, s4, s44                                     // 000000002760: 922D2C04
	s_sub_u32 s50, s46, s47                                    // 000000002764: 80B22F2E
	s_sub_i32 s82, s50, s66                                    // 000000002768: 81D24232
	s_add_u32 s82, s79, s82                                    // 00000000276C: 8052524F
	s_add_u32 s82, s62, s82                                    // 000000002770: 8052523E
	s_mov_b32 s83, 31                                          // 000000002774: BED3009F
	s_add_u32 s83, s83, s45                                    // 000000002778: 80532D53
	s_mul_i32 s84, s67, 32                                     // 00000000277C: 9254A043
	s_cmp_le_u32 s50, s45                                      // 000000002780: BF0B2D32
	s_cbranch_scc1 label_C7D4                                  // 000000002784: BF8530D1
	s_mul_i32 s56, s50, 4                                      // 000000002788: 92388432
	s_mov_b32 s26, s56                                         // 00000000278C: BE9A0038
	s_mul_i32 s56, s47, 4                                      // 000000002790: 9238842F
	s_add_u32 s24, s56, s24                                    // 000000002794: 80181838
	s_addc_u32 s25, 0, s25                                     // 000000002798: 82191980
	s_mov_b32 s70, 0                                           // 00000000279C: BEC60080
	s_sub_u32 s71, s50, s45                                    // 0000000027A0: 80C72D32
	s_mul_i32 s37, s67, s44                                    // 0000000027A4: 92252C43
	s_mov_b32 s36, s71                                         // 0000000027A8: BEA40047
	v_cvt_f32_u32_e32 v28, s37                                 // 0000000027AC: 7E380C25
	s_sub_i32 s56, 0, s37                                      // 0000000027B0: 81B82580
	v_rcp_iflag_f32_e32 v28, v28                               // 0000000027B4: 7E38471C
	s_nop 0                                                    // 0000000027B8: BF800000
	v_mul_f32_e32 v28, 0x4f7ffffe, v28                         // 0000000027BC: 0A3838FF 4F7FFFFE
	v_cvt_u32_f32_e32 v28, v28                                 // 0000000027C4: 7E380F1C
	v_mul_lo_u32 v29, s56, v28                                 // 0000000027C8: D285001D 00023838
	v_mul_hi_u32 v29, v28, v29                                 // 0000000027D0: D286001D 00023B1C
	v_add_u32_e32 v28, v28, v29                                // 0000000027D8: 68383B1C
	v_mul_hi_u32 v28, s36, v28                                 // 0000000027DC: D286001C 00023824
	v_mul_lo_u32 v29, v28, s37                                 // 0000000027E4: D285001D 00004B1C
	v_sub_u32_e32 v31, s36, v29                                // 0000000027EC: 6A3E3A24
	v_add_u32_e32 v30, 1, v28                                  // 0000000027F0: 683C3881
	v_cmp_le_u32_e32 vcc, s37, v31                             // 0000000027F4: 7D963E25
	v_subrev_u32_e32 v29, s37, v31                             // 0000000027F8: 6C3A3E25
	s_nop 0                                                    // 0000000027FC: BF800000
	v_cndmask_b32_e32 v28, v28, v30, vcc                       // 000000002800: 00383D1C
	v_cndmask_b32_e32 v31, v31, v29, vcc                       // 000000002804: 003E3B1F
	v_add_u32_e32 v29, 1, v28                                  // 000000002808: 683A3881
	v_cmp_le_u32_e32 vcc, s37, v31                             // 00000000280C: 7D963E25
	s_nop 1                                                    // 000000002810: BF800001
	v_cndmask_b32_e32 v31, v28, v29, vcc                       // 000000002814: 003E3B1C
	s_nop 3                                                    // 000000002818: BF800003
	v_readfirstlane_b32 s38, v31                               // 00000000281C: 7E4C051F
	s_nop 3                                                    // 000000002820: BF800003
	s_mov_b32 s71, s38                                         // 000000002824: BEC70026
	s_mul_i32 s56, s71, s37                                    // 000000002828: 92382547
	s_sub_u32 s56, s36, s56                                    // 00000000282C: 80B83824
	s_mov_b32 s57, 0                                           // 000000002830: BEB90080
	s_cmp_lt_u32 s56, s44                                      // 000000002834: BF0A2C38
	s_cselect_b32 s57, s57, 1                                  // 000000002838: 85398139
	s_add_u32 s71, s57, s71                                    // 00000000283C: 80474739
	s_cmpk_eq_u32 s57, 0x1                                     // 000000002840: B4390001
	s_cselect_b32 s49, 0, s56                                  // 000000002844: 85313880
	s_mov_b32 s48, s49                                         // 000000002848: BEB00031
	v_lshrrev_b32_e32 v28, 2, v0                               // 00000000284C: 20380082
	s_lshr_b32 s57, s7, 1                                      // 000000002850: 8F398107
	s_mul_i32 s56, 16, s57                                     // 000000002854: 92383990
	v_add_u32_e64 v26, v28, s56                                // 000000002858: D134001A 0000711C
	v_add_u32_e32 v26, s45, v26                                // 000000002860: 6834342D
	v_lshlrev_b32_e32 v26, 2, v26                              // 000000002864: 24343482
	buffer_load_dword v22, v26, s[24:27], 0 offen              // 000000002868: E0501000 8006161A
	v_add_u32_e32 v26, s73, v26                                // 000000002870: 68343449
	buffer_load_dword v23, v26, s[24:27], 0 offen              // 000000002874: E0501000 8006171A
	v_add_u32_e32 v26, s73, v26                                // 00000000287C: 68343449
	s_mul_i32 s56, 0x480, s92                                  // 000000002880: 92385CFF 00000480
	s_mul_i32 s56, s79, s56                                    // 000000002888: 9238384F
	s_add_u32 s16, s56, s16                                    // 00000000288C: 80101038
	s_addc_u32 s17, 0, s17                                     // 000000002890: 82111180
	s_mul_i32 s56, 0x480, s92                                  // 000000002894: 92385CFF 00000480
	s_mul_i32 s56, s56, s81                                    // 00000000289C: 92385138
	s_mov_b32 s18, s56                                         // 0000000028A0: BE920038
	s_mul_i32 s56, s7, 0x400                                   // 0000000028A4: 9238FF07 00000400
	s_add_u32 m0, 0, s56                                       // 0000000028AC: 807C3880
	v_and_b32_e32 v28, 3, v0                                   // 0000000028B0: 26380083
	v_mov_b32_e32 v29, 0                                       // 0000000028B4: 7E3A0280
	s_mov_b32 s56, 0                                           // 0000000028B8: BEB80080
	s_mov_b32 s57, -1                                          // 0000000028BC: BEB900C1
	v_cndmask_b32_e64 v30, v29, v28, s[56:57]                  // 0000000028C0: D100001E 00E2391D
	s_nop 2                                                    // 0000000028C8: BF800002
	v_mov_b32_dpp v30, v30 quad_perm:[2,3,0,1] row_mask:0xf bank_mask:0xf// 0000000028CC: 7E3C02FA FF004E1E
	v_cndmask_b32_e64 v31, v28, v30, s[56:57]                  // 0000000028D4: D100001F 00E23D1C
	v_lshlrev_b32_e32 v31, 4, v31                              // 0000000028DC: 243E3E84
	v_mov_b32_e32 v1, v31                                      // 0000000028E0: 7E02031F
	s_and_b32 s56, 1, s7                                       // 0000000028E4: 86380781
	s_mul_i32 s56, s56, 0x240                                  // 0000000028E8: 9238FF38 00000240
	v_add_u32_e64 v1, v1, s56                                  // 0000000028F0: D1340001 00007101
	v_lshrrev_b32_e32 v28, 2, v0                               // 0000000028F8: 20380082
	s_mov_b32 s56, 0x480                                       // 0000000028FC: BEB800FF 00000480
	v_mul_i32_i24_e64 v28, v28, s56                            // 000000002904: D106001C 0000711C
	s_mul_i32 s56, s7, 64                                      // 00000000290C: 9238C007
	v_add_u32_e32 v29, v28, v31                                // 000000002910: 683A3F1C
	v_add_u32_e64 v29, v29, s56                                // 000000002914: D134001D 0000711D
	buffer_load_dwordx4 v29, s[16:19], 0 offen lds             // 00000000291C: E05D1000 8004001D
	s_add_u32 m0, m0, 0x1000                                   // 000000002924: 807CFF7C 00001000
	v_add_u32_e32 v29, 0x100, v29                              // 00000000292C: 683A3AFF 00000100
	buffer_load_dwordx4 v29, s[16:19], 0 offen lds             // 000000002934: E05D1000 8004001D
	s_add_u32 m0, m0, 0x1000                                   // 00000000293C: 807CFF7C 00001000
	v_add_u32_e32 v29, 0x100, v29                              // 000000002944: 683A3AFF 00000100
	buffer_load_dwordx4 v29, s[16:19], 0 offen lds             // 00000000294C: E05D1000 8004001D
	s_add_u32 m0, m0, 0x1000                                   // 000000002954: 807CFF7C 00001000
	v_add_u32_e32 v29, 0x100, v29                              // 00000000295C: 683A3AFF 00000100
	buffer_load_dwordx4 v29, s[16:19], 0 offen lds             // 000000002964: E05D1000 8004001D
	s_add_u32 m0, m0, 0x1000                                   // 00000000296C: 807CFF7C 00001000
	v_add_u32_e32 v29, 0x100, v29                              // 000000002974: 683A3AFF 00000100
	buffer_load_dwordx4 v29, s[16:19], 0 offen lds             // 00000000297C: E05D1000 8004001D
	s_add_u32 m0, m0, 0x1000                                   // 000000002984: 807CFF7C 00001000
	v_add_u32_e32 v29, 0x100, v29                              // 00000000298C: 683A3AFF 00000100
	v_add_u32_e32 v29, 0x4300, v29                             // 000000002994: 683A3AFF 00004300
	buffer_load_dwordx4 v29, s[16:19], 0 offen lds             // 00000000299C: E05D1000 8004001D
	s_add_u32 m0, m0, 0x1000                                   // 0000000029A4: 807CFF7C 00001000
	v_add_u32_e32 v29, 0x100, v29                              // 0000000029AC: 683A3AFF 00000100
	buffer_load_dwordx4 v29, s[16:19], 0 offen lds             // 0000000029B4: E05D1000 8004001D
	s_add_u32 m0, m0, 0x1000                                   // 0000000029BC: 807CFF7C 00001000
	v_add_u32_e32 v29, 0x100, v29                              // 0000000029C4: 683A3AFF 00000100
	buffer_load_dwordx4 v29, s[16:19], 0 offen lds             // 0000000029CC: E05D1000 8004001D
	s_add_u32 m0, m0, 0x1000                                   // 0000000029D4: 807CFF7C 00001000
	v_add_u32_e32 v29, 0x100, v29                              // 0000000029DC: 683A3AFF 00000100
	buffer_load_dwordx4 v29, s[16:19], 0 offen lds             // 0000000029E4: E05D1000 8004001D
	s_add_u32 m0, m0, 0x1000                                   // 0000000029EC: 807CFF7C 00001000
	v_add_u32_e32 v29, 0x100, v29                              // 0000000029F4: 683A3AFF 00000100
	buffer_load_dwordx4 v29, s[16:19], 0 offen lds             // 0000000029FC: E05D1000 8004001D
	s_add_u32 m0, m0, 0x1000                                   // 000000002A04: 807CFF7C 00001000
	v_add_u32_e32 v29, 0x100, v29                              // 000000002A0C: 683A3AFF 00000100
	v_add_u32_e32 v29, 0x4300, v29                             // 000000002A14: 683A3AFF 00004300
	buffer_load_dwordx4 v29, s[16:19], 0 offen lds             // 000000002A1C: E05D1000 8004001D
	s_add_u32 m0, m0, 0x1000                                   // 000000002A24: 807CFF7C 00001000
	v_add_u32_e32 v29, 0x100, v29                              // 000000002A2C: 683A3AFF 00000100
	buffer_load_dwordx4 v29, s[16:19], 0 offen lds             // 000000002A34: E05D1000 8004001D
	s_add_u32 m0, m0, 0x1000                                   // 000000002A3C: 807CFF7C 00001000
	v_add_u32_e32 v29, 0x100, v29                              // 000000002A44: 683A3AFF 00000100
	buffer_load_dwordx4 v29, s[16:19], 0 offen lds             // 000000002A4C: E05D1000 8004001D
	s_add_u32 m0, m0, 0x1000                                   // 000000002A54: 807CFF7C 00001000
	v_add_u32_e32 v29, 0x100, v29                              // 000000002A5C: 683A3AFF 00000100
	buffer_load_dwordx4 v29, s[16:19], 0 offen lds             // 000000002A64: E05D1000 8004001D
	s_add_u32 m0, m0, 0x1000                                   // 000000002A6C: 807CFF7C 00001000
	v_add_u32_e32 v29, 0x100, v29                              // 000000002A74: 683A3AFF 00000100
	buffer_load_dwordx4 v29, s[16:19], 0 offen lds             // 000000002A7C: E05D1000 8004001D
	s_add_u32 m0, m0, 0x1000                                   // 000000002A84: 807CFF7C 00001000
	v_add_u32_e32 v29, 0x100, v29                              // 000000002A8C: 683A3AFF 00000100
	v_add_u32_e32 v29, 0x4300, v29                             // 000000002A94: 683A3AFF 00004300
	buffer_load_dwordx4 v29, s[16:19], 0 offen lds             // 000000002A9C: E05D1000 8004001D
	s_add_u32 m0, m0, 0x1000                                   // 000000002AA4: 807CFF7C 00001000
	v_add_u32_e32 v29, 0x100, v29                              // 000000002AAC: 683A3AFF 00000100
	buffer_load_dwordx4 v29, s[16:19], 0 offen lds             // 000000002AB4: E05D1000 8004001D
	s_add_u32 m0, m0, 0x1000                                   // 000000002ABC: 807CFF7C 00001000
	v_add_u32_e32 v29, 0x100, v29                              // 000000002AC4: 683A3AFF 00000100
	buffer_load_dwordx4 v29, s[16:19], 0 offen lds             // 000000002ACC: E05D1000 8004001D
	s_add_u32 m0, m0, 0x1000                                   // 000000002AD4: 807CFF7C 00001000
	v_add_u32_e32 v29, 0x100, v29                              // 000000002ADC: 683A3AFF 00000100
	buffer_load_dwordx4 v29, s[16:19], 0 offen lds             // 000000002AE4: E05D1000 8004001D
	s_add_u32 m0, m0, 0x1000                                   // 000000002AEC: 807CFF7C 00001000
	v_add_u32_e32 v29, 0x100, v29                              // 000000002AF4: 683A3AFF 00000100
	buffer_load_dwordx4 v29, s[16:19], 0 offen lds             // 000000002AFC: E05D1000 8004001D
	s_add_u32 m0, m0, 0x1000                                   // 000000002B04: 807CFF7C 00001000
	v_add_u32_e32 v29, 0x100, v29                              // 000000002B0C: 683A3AFF 00000100
	v_add_u32_e32 v29, 0x4300, v29                             // 000000002B14: 683A3AFF 00004300
	s_mov_b32 s52, 0x7060302                                   // 000000002B1C: BEB400FF 07060302
	s_mov_b32 s53, 0x5040100                                   // 000000002B24: BEB500FF 05040100
	s_mul_i32 s51, s7, 4                                       // 000000002B2C: 92338407
	s_mov_b32 s6, 0x3fb8aa3b                                   // 000000002B30: BE8600FF 3FB8AA3B
	v_mov_b32_e32 v29, s6                                      // 000000002B38: 7E3A0206
	v_mov_b32_e32 v28, s64                                     // 000000002B3C: 7E380240
	v_mul_f32_e32 v28, s6, v28                                 // 000000002B40: 0A383806
	v_rcp_f32_e32 v29, v29                                     // 000000002B44: 7E3A451D
	v_mov_b32_e32 v2, 0xff800000                               // 000000002B48: 7E0402FF FF800000
	v_mov_b32_e32 v16, 0                                       // 000000002B50: 7E200280
	v_mov_b32_e32 v4, 0                                        // 000000002B54: 7E080280
	v_readfirstlane_b32 s5, v28                                // 000000002B58: 7E0A051C
	v_readfirstlane_b32 s63, v29                               // 000000002B5C: 7E7E051D
	s_waitcnt vmcnt(20)                                        // 000000002B60: BF8C4F74
	v_mul_u32_u24_e64 v32, v22, s68                            // 000000002B64: D1080020 00008916
	v_add_u32_e32 v32, v32, v1                                 // 000000002B6C: 68400320
	s_mov_b32 s56, 0x14000                                     // 000000002B70: BEB800FF 00014000
	s_mul_i32 s57, s7, 0x2400                                  // 000000002B78: 9239FF07 00002400
	s_add_u32 m0, s56, s57                                     // 000000002B80: 807C3938
	buffer_load_dwordx4 v32, s[20:23], 0 offen lds             // 000000002B84: E05D1000 80050020
	s_add_i32 m0, m0, 0x3c0                                    // 000000002B8C: 817CFF7C 000003C0
	buffer_load_dwordx4 v32, s[20:23], 0 offen offset:64 lds   // 000000002B94: E05D1040 80050020
	s_add_i32 m0, m0, 0x3c0                                    // 000000002B9C: 817CFF7C 000003C0
	buffer_load_dwordx4 v32, s[20:23], 0 offen offset:128 lds  // 000000002BA4: E05D1080 80050020
	s_add_i32 m0, m0, 0x3c0                                    // 000000002BAC: 817CFF7C 000003C0
	buffer_load_dwordx4 v32, s[20:23], 0 offen offset:192 lds  // 000000002BB4: E05D10C0 80050020
	s_add_i32 m0, m0, 0x3c0                                    // 000000002BBC: 817CFF7C 000003C0
	buffer_load_dwordx4 v32, s[20:23], 0 offen offset:256 lds  // 000000002BC4: E05D1100 80050020
	s_add_i32 m0, m0, 0x3c0                                    // 000000002BCC: 817CFF7C 000003C0
	buffer_load_dwordx4 v32, s[20:23], 0 offen offset:320 lds  // 000000002BD4: E05D1140 80050020
	s_add_i32 m0, m0, 0x3c0                                    // 000000002BDC: 817CFF7C 000003C0
	buffer_load_dwordx4 v32, s[20:23], 0 offen offset:384 lds  // 000000002BE4: E05D1180 80050020
	s_add_i32 m0, m0, 0x3c0                                    // 000000002BEC: 817CFF7C 000003C0
	buffer_load_dwordx4 v32, s[20:23], 0 offen offset:448 lds  // 000000002BF4: E05D11C0 80050020
	s_add_i32 m0, m0, 0x3c0                                    // 000000002BFC: 817CFF7C 000003C0
	buffer_load_dwordx4 v32, s[20:23], 0 offen offset:512 lds  // 000000002C04: E05D1200 80050020
	s_add_i32 m0, m0, 0x3c0                                    // 000000002C0C: 817CFF7C 000003C0
	buffer_load_dword v24, v26, s[24:27], 0 offen              // 000000002C14: E0501000 8006181A
	v_add_u32_e32 v26, s73, v26                                // 000000002C1C: 68343449
	v_lshrrev_b32_e32 v28, 4, v0                               // 000000002C20: 20380084
	v_lshlrev_b32_e32 v28, 2, v28                              // 000000002C24: 24383882
	v_sub_u32_e32 v29, 12, v28                                 // 000000002C28: 6A3A388C
	v_mov_b32_e32 v30, v29                                     // 000000002C2C: 7E3C031D
	s_nop 1                                                    // 000000002C30: BF800001
	v_permlane16_swap_b32_e32 v29, v30                         // 000000002C34: 7E3AB31E
	s_nop 1                                                    // 000000002C38: BF800001
	v_permlane16_swap_b32_e32 v30, v29                         // 000000002C3C: 7E3CB31D
	s_mov_b32 s56, 0xff00ff00                                  // 000000002C40: BEB800FF FF00FF00
	s_mov_b32 s57, 0xff00ff00                                  // 000000002C48: BEB900FF FF00FF00
	v_cndmask_b32_e64 v30, v28, v29, s[56:57]                  // 000000002C50: D100001E 00E23B1C
	v_and_b32_e32 v28, 15, v0                                  // 000000002C58: 2638008F
	v_lshlrev_b32_e32 v28, 4, v28                              // 000000002C5C: 24383884
	v_add_u32_e32 v6, v28, v30                                 // 000000002C60: 680C3D1C
	v_lshlrev_b32_e32 v6, 2, v6                                // 000000002C64: 240C0C82
	s_mul_i32 s56, s7, 0x5000                                  // 000000002C68: 9238FF07 00005000
	v_add_u32_e32 v6, s56, v6                                  // 000000002C70: 680C0C38
	s_waitcnt vmcnt(10)                                        // 000000002C74: BF8C0F7A
	s_barrier                                                  // 000000002C78: BF8A0000
	ds_read_b128 a[0:3], v6                                    // 000000002C7C: DBFE0000 00000006
	ds_read_b128 a[4:7], v6 offset:1024                        // 000000002C84: DBFE0400 04000006
	ds_read_b128 a[8:11], v6 offset:2048                       // 000000002C8C: DBFE0800 08000006
	ds_read_b128 a[12:15], v6 offset:3072                      // 000000002C94: DBFE0C00 0C000006
	ds_read_b128 a[16:19], v6 offset:4096                      // 000000002C9C: DBFE1000 10000006
	ds_read_b128 a[20:23], v6 offset:5120                      // 000000002CA4: DBFE1400 14000006
	ds_read_b128 a[24:27], v6 offset:6144                      // 000000002CAC: DBFE1800 18000006
	ds_read_b128 a[28:31], v6 offset:7168                      // 000000002CB4: DBFE1C00 1C000006
	ds_read_b128 a[32:35], v6 offset:8192                      // 000000002CBC: DBFE2000 20000006
	ds_read_b128 a[36:39], v6 offset:9216                      // 000000002CC4: DBFE2400 24000006
	ds_read_b128 a[40:43], v6 offset:10240                     // 000000002CCC: DBFE2800 28000006
	ds_read_b128 a[44:47], v6 offset:11264                     // 000000002CD4: DBFE2C00 2C000006
	ds_read_b128 a[48:51], v6 offset:12288                     // 000000002CDC: DBFE3000 30000006
	ds_read_b128 a[52:55], v6 offset:13312                     // 000000002CE4: DBFE3400 34000006
	ds_read_b128 a[56:59], v6 offset:14336                     // 000000002CEC: DBFE3800 38000006
	ds_read_b128 a[60:63], v6 offset:15360                     // 000000002CF4: DBFE3C00 3C000006
	ds_read_b128 a[64:67], v6 offset:16384                     // 000000002CFC: DBFE4000 40000006
	ds_read_b128 a[68:71], v6 offset:17408                     // 000000002D04: DBFE4400 44000006
	v_mov_b32_e32 v50, 0                                       // 000000002D0C: 7E640280
	v_mov_b32_e32 v51, 0                                       // 000000002D10: 7E660280
	v_mov_b32_e32 v52, 0                                       // 000000002D14: 7E680280
	v_mov_b32_e32 v53, 0                                       // 000000002D18: 7E6A0280
	v_mov_b32_e32 v54, 0                                       // 000000002D1C: 7E6C0280
	v_mov_b32_e32 v55, 0                                       // 000000002D20: 7E6E0280
	v_mov_b32_e32 v56, 0                                       // 000000002D24: 7E700280
	v_mov_b32_e32 v57, 0                                       // 000000002D28: 7E720280
	v_mov_b32_e32 v58, 0                                       // 000000002D2C: 7E740280
	v_mov_b32_e32 v59, 0                                       // 000000002D30: 7E760280
	v_mov_b32_e32 v60, 0                                       // 000000002D34: 7E780280
	v_mov_b32_e32 v61, 0                                       // 000000002D38: 7E7A0280
	v_mov_b32_e32 v62, 0                                       // 000000002D3C: 7E7C0280
	v_mov_b32_e32 v63, 0                                       // 000000002D40: 7E7E0280
	v_mov_b32_e32 v64, 0                                       // 000000002D44: 7E800280
	v_mov_b32_e32 v65, 0                                       // 000000002D48: 7E820280
	v_mov_b32_e32 v66, 0                                       // 000000002D4C: 7E840280
	v_mov_b32_e32 v67, 0                                       // 000000002D50: 7E860280
	v_mov_b32_e32 v68, 0                                       // 000000002D54: 7E880280
	v_mov_b32_e32 v69, 0                                       // 000000002D58: 7E8A0280
	v_mov_b32_e32 v70, 0                                       // 000000002D5C: 7E8C0280
	v_mov_b32_e32 v71, 0                                       // 000000002D60: 7E8E0280
	v_mov_b32_e32 v72, 0                                       // 000000002D64: 7E900280
	v_mov_b32_e32 v73, 0                                       // 000000002D68: 7E920280
	v_mov_b32_e32 v74, 0                                       // 000000002D6C: 7E940280
	v_mov_b32_e32 v75, 0                                       // 000000002D70: 7E960280
	v_mov_b32_e32 v76, 0                                       // 000000002D74: 7E980280
	v_mov_b32_e32 v77, 0                                       // 000000002D78: 7E9A0280
	v_mov_b32_e32 v78, 0                                       // 000000002D7C: 7E9C0280
	v_mov_b32_e32 v79, 0                                       // 000000002D80: 7E9E0280
	v_mov_b32_e32 v80, 0                                       // 000000002D84: 7EA00280
	v_mov_b32_e32 v81, 0                                       // 000000002D88: 7EA20280
	v_mov_b32_e32 v82, 0                                       // 000000002D8C: 7EA40280
	v_mov_b32_e32 v83, 0                                       // 000000002D90: 7EA60280
	v_mov_b32_e32 v84, 0                                       // 000000002D94: 7EA80280
	v_mov_b32_e32 v85, 0                                       // 000000002D98: 7EAA0280
	v_mov_b32_e32 v86, 0                                       // 000000002D9C: 7EAC0280
	v_mov_b32_e32 v87, 0                                       // 000000002DA0: 7EAE0280
	v_mov_b32_e32 v88, 0                                       // 000000002DA4: 7EB00280
	v_mov_b32_e32 v89, 0                                       // 000000002DA8: 7EB20280
	v_mov_b32_e32 v90, 0                                       // 000000002DAC: 7EB40280
	v_mov_b32_e32 v91, 0                                       // 000000002DB0: 7EB60280
	v_mov_b32_e32 v92, 0                                       // 000000002DB4: 7EB80280
	v_mov_b32_e32 v93, 0                                       // 000000002DB8: 7EBA0280
	v_mov_b32_e32 v94, 0                                       // 000000002DBC: 7EBC0280
	v_mov_b32_e32 v95, 0                                       // 000000002DC0: 7EBE0280
	v_mov_b32_e32 v96, 0                                       // 000000002DC4: 7EC00280
	v_mov_b32_e32 v97, 0                                       // 000000002DC8: 7EC20280
	v_mov_b32_e32 v98, 0                                       // 000000002DCC: 7EC40280
	v_mov_b32_e32 v99, 0                                       // 000000002DD0: 7EC60280
	v_mov_b32_e32 v100, 0                                      // 000000002DD4: 7EC80280
	v_mov_b32_e32 v101, 0                                      // 000000002DD8: 7ECA0280
	v_mov_b32_e32 v102, 0                                      // 000000002DDC: 7ECC0280
	v_mov_b32_e32 v103, 0                                      // 000000002DE0: 7ECE0280
	v_mov_b32_e32 v104, 0                                      // 000000002DE4: 7ED00280
	v_mov_b32_e32 v105, 0                                      // 000000002DE8: 7ED20280
	v_mov_b32_e32 v106, 0                                      // 000000002DEC: 7ED40280
	v_mov_b32_e32 v107, 0                                      // 000000002DF0: 7ED60280
	v_mov_b32_e32 v108, 0                                      // 000000002DF4: 7ED80280
	v_mov_b32_e32 v109, 0                                      // 000000002DF8: 7EDA0280
	v_mov_b32_e32 v110, 0                                      // 000000002DFC: 7EDC0280
	v_mov_b32_e32 v111, 0                                      // 000000002E00: 7EDE0280
	v_mov_b32_e32 v112, 0                                      // 000000002E04: 7EE00280
	v_mov_b32_e32 v113, 0                                      // 000000002E08: 7EE20280
	v_mov_b32_e32 v114, 0                                      // 000000002E0C: 7EE40280
	v_mov_b32_e32 v115, 0                                      // 000000002E10: 7EE60280
	v_mov_b32_e32 v116, 0                                      // 000000002E14: 7EE80280
	v_mov_b32_e32 v117, 0                                      // 000000002E18: 7EEA0280
	v_mov_b32_e32 v118, 0                                      // 000000002E1C: 7EEC0280
	v_mov_b32_e32 v119, 0                                      // 000000002E20: 7EEE0280
	v_mov_b32_e32 v120, 0                                      // 000000002E24: 7EF00280
	v_mov_b32_e32 v121, 0                                      // 000000002E28: 7EF20280
	v_mov_b32_e32 v122, 0                                      // 000000002E2C: 7EF40280
	v_mov_b32_e32 v123, 0                                      // 000000002E30: 7EF60280
	v_mov_b32_e32 v124, 0                                      // 000000002E34: 7EF80280
	v_mov_b32_e32 v125, 0                                      // 000000002E38: 7EFA0280
	v_mov_b32_e32 v126, 0                                      // 000000002E3C: 7EFC0280
	v_mov_b32_e32 v127, 0                                      // 000000002E40: 7EFE0280
	v_mov_b32_e32 v128, 0                                      // 000000002E44: 7F000280
	v_mov_b32_e32 v129, 0                                      // 000000002E48: 7F020280
	v_mov_b32_e32 v130, 0                                      // 000000002E4C: 7F040280
	v_mov_b32_e32 v131, 0                                      // 000000002E50: 7F060280
	v_mov_b32_e32 v132, 0                                      // 000000002E54: 7F080280
	v_mov_b32_e32 v133, 0                                      // 000000002E58: 7F0A0280
	v_mov_b32_e32 v134, 0                                      // 000000002E5C: 7F0C0280
	v_mov_b32_e32 v135, 0                                      // 000000002E60: 7F0E0280
	v_mov_b32_e32 v136, 0                                      // 000000002E64: 7F100280
	v_mov_b32_e32 v137, 0                                      // 000000002E68: 7F120280
	v_mov_b32_e32 v138, 0                                      // 000000002E6C: 7F140280
	v_mov_b32_e32 v139, 0                                      // 000000002E70: 7F160280
	v_mov_b32_e32 v140, 0                                      // 000000002E74: 7F180280
	v_mov_b32_e32 v141, 0                                      // 000000002E78: 7F1A0280
	v_mov_b32_e32 v142, 0                                      // 000000002E7C: 7F1C0280
	v_mov_b32_e32 v143, 0                                      // 000000002E80: 7F1E0280
	v_mov_b32_e32 v144, 0                                      // 000000002E84: 7F200280
	v_mov_b32_e32 v145, 0                                      // 000000002E88: 7F220280
	v_mov_b32_e32 v146, 0                                      // 000000002E8C: 7F240280
	v_mov_b32_e32 v147, 0                                      // 000000002E90: 7F260280
	v_mov_b32_e32 v148, 0                                      // 000000002E94: 7F280280
	v_mov_b32_e32 v149, 0                                      // 000000002E98: 7F2A0280
	v_mov_b32_e32 v150, 0                                      // 000000002E9C: 7F2C0280
	v_mov_b32_e32 v151, 0                                      // 000000002EA0: 7F2E0280
	v_mov_b32_e32 v152, 0                                      // 000000002EA4: 7F300280
	v_mov_b32_e32 v153, 0                                      // 000000002EA8: 7F320280
	v_mov_b32_e32 v154, 0                                      // 000000002EAC: 7F340280
	v_mov_b32_e32 v155, 0                                      // 000000002EB0: 7F360280
	v_mov_b32_e32 v156, 0                                      // 000000002EB4: 7F380280
	v_mov_b32_e32 v157, 0                                      // 000000002EB8: 7F3A0280
	v_mov_b32_e32 v158, 0                                      // 000000002EBC: 7F3C0280
	v_mov_b32_e32 v159, 0                                      // 000000002EC0: 7F3E0280
	v_mov_b32_e32 v160, 0                                      // 000000002EC4: 7F400280
	v_mov_b32_e32 v161, 0                                      // 000000002EC8: 7F420280
	v_mov_b32_e32 v162, 0                                      // 000000002ECC: 7F440280
	v_mov_b32_e32 v163, 0                                      // 000000002ED0: 7F460280
	v_mov_b32_e32 v164, 0                                      // 000000002ED4: 7F480280
	v_mov_b32_e32 v165, 0                                      // 000000002ED8: 7F4A0280
	v_mov_b32_e32 v166, 0                                      // 000000002EDC: 7F4C0280
	v_mov_b32_e32 v167, 0                                      // 000000002EE0: 7F4E0280
	v_mov_b32_e32 v168, 0                                      // 000000002EE4: 7F500280
	v_mov_b32_e32 v169, 0                                      // 000000002EE8: 7F520280
	v_mov_b32_e32 v170, 0                                      // 000000002EEC: 7F540280
	v_mov_b32_e32 v171, 0                                      // 000000002EF0: 7F560280
	v_mov_b32_e32 v172, 0                                      // 000000002EF4: 7F580280
	v_mov_b32_e32 v173, 0                                      // 000000002EF8: 7F5A0280
	v_mov_b32_e32 v174, 0                                      // 000000002EFC: 7F5C0280
	v_mov_b32_e32 v175, 0                                      // 000000002F00: 7F5E0280
	v_mov_b32_e32 v176, 0                                      // 000000002F04: 7F600280
	v_mov_b32_e32 v177, 0                                      // 000000002F08: 7F620280
	v_lshrrev_b32_e32 v28, 4, v0                               // 000000002F0C: 20380084
	v_lshlrev_b32_e32 v28, 2, v28                              // 000000002F10: 24383882
	v_sub_u32_e32 v29, 12, v28                                 // 000000002F14: 6A3A388C
	v_mov_b32_e32 v30, v29                                     // 000000002F18: 7E3C031D
	s_nop 1                                                    // 000000002F1C: BF800001
	v_permlane16_swap_b32_e32 v29, v30                         // 000000002F20: 7E3AB31E
	s_nop 1                                                    // 000000002F24: BF800001
	v_permlane16_swap_b32_e32 v30, v29                         // 000000002F28: 7E3CB31D
	s_mov_b32 s56, 0xff00ff00                                  // 000000002F2C: BEB800FF FF00FF00
	s_mov_b32 s57, 0xff00ff00                                  // 000000002F34: BEB900FF FF00FF00
	v_cndmask_b32_e64 v30, v28, v29, s[56:57]                  // 000000002F3C: D100001E 00E23B1C
	v_and_b32_e32 v28, 15, v0                                  // 000000002F44: 2638008F
	v_lshlrev_b32_e32 v28, 4, v28                              // 000000002F48: 24383884
	v_add_u32_e32 v18, v28, v30                                // 000000002F4C: 68243D1C
	v_lshlrev_b32_e32 v19, 2, v18                              // 000000002F50: 24262482
	s_mov_b32 s56, 0x2000                                      // 000000002F54: BEB800FF 00002000
	v_add_u32_e32 v18, s56, v19                                // 000000002F5C: 68242638
	s_mov_b32 s57, 0x9000                                      // 000000002F60: BEB900FF 00009000
	v_add_u32_e32 v19, s57, v18                                // 000000002F68: 68262439
	v_add_u32_e32 v20, s57, v19                                // 000000002F6C: 68282639
	v_add_u32_e32 v21, s57, v20                                // 000000002F70: 682A2839
	v_and_b32_e32 v28, 15, v0                                  // 000000002F74: 2638008F
	v_lshrrev_b32_e32 v29, 2, v28                              // 000000002F78: 203A3882
	v_and_b32_e32 v30, 16, v0                                  // 000000002F7C: 263C0090
	v_lshrrev_b32_e32 v30, 1, v30                              // 000000002F80: 203C3C81
	v_add_u32_e32 v31, v30, v29                                // 000000002F84: 683E3B1E
	v_lshlrev_b32_e32 v31, 4, v31                              // 000000002F88: 243E3E84
	v_and_b32_e32 v29, 3, v0                                   // 000000002F8C: 263A0083
	v_lshlrev_b32_e32 v30, 1, v29                              // 000000002F90: 243C3A81
	v_add_u32_e32 v31, v31, v30                                // 000000002F94: 683E3D1F
	v_mov_b32_e32 v28, 0                                       // 000000002F98: 7E380280
	v_mov_b32_e32 v29, 8                                       // 000000002F9C: 7E3A0288
	s_mov_b32 s57, 0xffff0000                                  // 000000002FA0: BEB900FF FFFF0000
	s_mov_b32 s56, 0xffff0000                                  // 000000002FA8: BEB800FF FFFF0000
	v_cndmask_b32_e64 v50, v28, v29, s[56:57]                  // 000000002FB0: D1000032 00E23B1C
	v_cndmask_b32_e64 v51, v29, v28, s[56:57]                  // 000000002FB8: D1000033 00E2391D
	v_add_u32_e32 v8, v31, v50                                 // 000000002FC0: 6810651F
	v_add_u32_e32 v9, v31, v51                                 // 000000002FC4: 6812671F
	v_lshrrev_b32_e32 v28, 5, v0                               // 000000002FC8: 20380085
	s_mov_b32 s57, 0x1200                                      // 000000002FCC: BEB900FF 00001200
	v_mul_i32_i24_e32 v28, s57, v28                            // 000000002FD4: 0C383839
	v_add_u32_e32 v8, v8, v28                                  // 000000002FD8: 68103908
	v_add_u32_e32 v9, v9, v28                                  // 000000002FDC: 68123909
	v_lshlrev_b32_e32 v8, 2, v8                                // 000000002FE0: 24101082
	v_lshlrev_b32_e32 v9, 2, v9                                // 000000002FE4: 24121282
	s_mov_b32 s56, 0x2000                                      // 000000002FE8: BEB800FF 00002000
	v_add_u32_e32 v8, s56, v8                                  // 000000002FF0: 68101038
	v_add_u32_e32 v9, s56, v9                                  // 000000002FF4: 68121238
	s_mov_b32 s56, 0x9000                                      // 000000002FF8: BEB800FF 00009000
	v_add_u32_e32 v10, s56, v8                                 // 000000003000: 68141038
	v_add_u32_e32 v11, s56, v9                                 // 000000003004: 68161238
	v_add_u32_e32 v12, s56, v10                                // 000000003008: 68181438
	v_add_u32_e32 v13, s56, v11                                // 00000000300C: 681A1638
	v_add_u32_e32 v14, s56, v12                                // 000000003010: 681C1838
	v_add_u32_e32 v15, s56, v13                                // 000000003014: 681E1A38
	v_mul_u32_u24_e64 v32, v23, s68                            // 000000003018: D1080020 00008917
	v_add_u32_e32 v32, v32, v1                                 // 000000003020: 68400320
	s_mov_b32 s56, 0x1d000                                     // 000000003024: BEB800FF 0001D000
	s_mul_i32 s57, s7, 0x2400                                  // 00000000302C: 9239FF07 00002400
	s_add_u32 m0, s56, s57                                     // 000000003034: 807C3938
	buffer_load_dwordx4 v32, s[20:23], 0 offen lds             // 000000003038: E05D1000 80050020
	s_add_i32 m0, m0, 0x3c0                                    // 000000003040: 817CFF7C 000003C0
	buffer_load_dwordx4 v32, s[20:23], 0 offen offset:64 lds   // 000000003048: E05D1040 80050020
	s_add_i32 m0, m0, 0x3c0                                    // 000000003050: 817CFF7C 000003C0
	buffer_load_dwordx4 v32, s[20:23], 0 offen offset:128 lds  // 000000003058: E05D1080 80050020
	s_add_i32 m0, m0, 0x3c0                                    // 000000003060: 817CFF7C 000003C0
	buffer_load_dwordx4 v32, s[20:23], 0 offen offset:192 lds  // 000000003068: E05D10C0 80050020
	s_add_i32 m0, m0, 0x3c0                                    // 000000003070: 817CFF7C 000003C0
	buffer_load_dwordx4 v32, s[20:23], 0 offen offset:256 lds  // 000000003078: E05D1100 80050020
	s_add_i32 m0, m0, 0x3c0                                    // 000000003080: 817CFF7C 000003C0
	buffer_load_dwordx4 v32, s[20:23], 0 offen offset:320 lds  // 000000003088: E05D1140 80050020
	s_add_i32 m0, m0, 0x3c0                                    // 000000003090: 817CFF7C 000003C0
	buffer_load_dwordx4 v32, s[20:23], 0 offen offset:384 lds  // 000000003098: E05D1180 80050020
	s_add_i32 m0, m0, 0x3c0                                    // 0000000030A0: 817CFF7C 000003C0
	buffer_load_dwordx4 v32, s[20:23], 0 offen offset:448 lds  // 0000000030A8: E05D11C0 80050020
	s_add_i32 m0, m0, 0x3c0                                    // 0000000030B0: 817CFF7C 000003C0
	buffer_load_dwordx4 v32, s[20:23], 0 offen offset:512 lds  // 0000000030B8: E05D1200 80050020
	s_add_i32 m0, m0, 0x3c0                                    // 0000000030C0: 817CFF7C 000003C0
	buffer_load_dword v25, v26, s[24:27], 0 offen              // 0000000030C8: E0501000 8006191A
	v_add_u32_e32 v26, s73, v26                                // 0000000030D0: 68343449
	s_waitcnt vmcnt(10)                                        // 0000000030D4: BF8C0F7A
	s_barrier                                                  // 0000000030D8: BF8A0000
	s_waitcnt lgkmcnt(0)                                       // 0000000030DC: BF8CC07F
	ds_read_b128 a[72:75], v20                                 // 0000000030E0: DBFE0000 48000014
	ds_read_b128 a[76:79], v20 offset:1024                     // 0000000030E8: DBFE0400 4C000014
	ds_read_b128 a[80:83], v20 offset:2048                     // 0000000030F0: DBFE0800 50000014
	ds_read_b128 a[84:87], v20 offset:3072                     // 0000000030F8: DBFE0C00 54000014
	ds_read_b128 a[88:91], v20 offset:4096                     // 000000003100: DBFE1000 58000014
	ds_read_b128 a[92:95], v20 offset:5120                     // 000000003108: DBFE1400 5C000014
	ds_read_b128 a[96:99], v20 offset:6144                     // 000000003110: DBFE1800 60000014
	ds_read_b128 a[100:103], v20 offset:7168                   // 000000003118: DBFE1C00 64000014
	ds_read_b128 a[104:107], v20 offset:8192                   // 000000003120: DBFE2000 68000014
	ds_read_b128 a[108:111], v20 offset:9216                   // 000000003128: DBFE2400 6C000014
	ds_read_b128 a[112:115], v20 offset:10240                  // 000000003130: DBFE2800 70000014
	ds_read_b128 a[116:119], v20 offset:11264                  // 000000003138: DBFE2C00 74000014
	ds_read_b128 a[120:123], v20 offset:12288                  // 000000003140: DBFE3000 78000014
	ds_read_b128 a[124:127], v20 offset:13312                  // 000000003148: DBFE3400 7C000014
	ds_read_b128 a[128:131], v20 offset:14336                  // 000000003150: DBFE3800 80000014
	ds_read_b128 a[132:135], v20 offset:15360                  // 000000003158: DBFE3C00 84000014
	ds_read_b128 a[136:139], v20 offset:16384                  // 000000003160: DBFE4000 88000014
	ds_read_b128 a[140:143], v20 offset:17408                  // 000000003168: DBFE4400 8C000014
	s_cmp_lt_u32 s71, 1                                        // 000000003170: BF0A8147
	s_cbranch_scc1 label_8CC0                                  // 000000003174: BF852012
	s_waitcnt lgkmcnt(4)                                       // 000000003178: BF8CC47F
	v_mfma_f32_16x16x32_bf16 v[34:37], a[72:75], a[0:3], 0     // 00000000317C: D3B50022 1A020148
	v_mul_u32_u24_e64 v32, v24, s68                            // 000000003184: D1080020 00008918
	v_add_u32_e32 v32, v32, v1                                 // 00000000318C: 68400320
	buffer_load_dword v22, v26, s[24:27], 0 offen              // 000000003190: E0501000 8006161A
	v_mfma_f32_16x16x32_bf16 v[34:37], a[76:79], a[4:7], v[34:37]// 000000003198: D3B50022 1C8A094C
	s_mov_b32 s56, 0x2000                                      // 0000000031A0: BEB800FF 00002000
	s_mul_i32 s57, s7, 0x2400                                  // 0000000031A8: 9239FF07 00002400
	s_add_u32 m0, s56, s57                                     // 0000000031B0: 807C3938
	buffer_load_dwordx4 v32, s[20:23], 0 offen lds             // 0000000031B4: E05D1000 80050020
	s_add_i32 m0, m0, 0x3c0                                    // 0000000031BC: 817CFF7C 000003C0
	v_mfma_f32_16x16x32_bf16 v[34:37], a[80:83], a[8:11], v[34:37]// 0000000031C4: D3B50022 1C8A1150
	buffer_load_dwordx4 v32, s[20:23], 0 offen offset:64 lds   // 0000000031CC: E05D1040 80050020
	s_add_i32 m0, m0, 0x3c0                                    // 0000000031D4: 817CFF7C 000003C0
	v_mfma_f32_16x16x32_bf16 v[34:37], a[84:87], a[12:15], v[34:37]// 0000000031DC: D3B50022 1C8A1954
	buffer_load_dwordx4 v32, s[20:23], 0 offen offset:128 lds  // 0000000031E4: E05D1080 80050020
	s_add_i32 m0, m0, 0x3c0                                    // 0000000031EC: 817CFF7C 000003C0
	v_mfma_f32_16x16x32_bf16 v[34:37], a[88:91], a[16:19], v[34:37]// 0000000031F4: D3B50022 1C8A2158
	buffer_load_dwordx4 v32, s[20:23], 0 offen offset:192 lds  // 0000000031FC: E05D10C0 80050020
	s_add_i32 m0, m0, 0x3c0                                    // 000000003204: 817CFF7C 000003C0
	v_mfma_f32_16x16x32_bf16 v[34:37], a[92:95], a[20:23], v[34:37]// 00000000320C: D3B50022 1C8A295C
	buffer_load_dwordx4 v32, s[20:23], 0 offen offset:256 lds  // 000000003214: E05D1100 80050020
	s_add_i32 m0, m0, 0x3c0                                    // 00000000321C: 817CFF7C 000003C0
	v_mfma_f32_16x16x32_bf16 v[34:37], a[96:99], a[24:27], v[34:37]// 000000003224: D3B50022 1C8A3160
	buffer_load_dwordx4 v32, s[20:23], 0 offen offset:320 lds  // 00000000322C: E05D1140 80050020
	s_add_i32 m0, m0, 0x3c0                                    // 000000003234: 817CFF7C 000003C0
	v_mfma_f32_16x16x32_bf16 v[34:37], a[100:103], a[28:31], v[34:37]// 00000000323C: D3B50022 1C8A3964
	buffer_load_dwordx4 v32, s[20:23], 0 offen offset:384 lds  // 000000003244: E05D1180 80050020
	s_add_i32 m0, m0, 0x3c0                                    // 00000000324C: 817CFF7C 000003C0
	v_mfma_f32_16x16x32_bf16 v[34:37], a[104:107], a[32:35], v[34:37]// 000000003254: D3B50022 1C8A4168
	buffer_load_dwordx4 v32, s[20:23], 0 offen offset:448 lds  // 00000000325C: E05D11C0 80050020
	s_add_i32 m0, m0, 0x3c0                                    // 000000003264: 817CFF7C 000003C0
	v_mfma_f32_16x16x32_bf16 v[34:37], a[108:111], a[36:39], v[34:37]// 00000000326C: D3B50022 1C8A496C
	buffer_load_dwordx4 v32, s[20:23], 0 offen offset:512 lds  // 000000003274: E05D1200 80050020
	s_add_i32 m0, m0, 0x3c0                                    // 00000000327C: 817CFF7C 000003C0
	v_mfma_f32_16x16x32_bf16 v[34:37], a[112:115], a[40:43], v[34:37]// 000000003284: D3B50022 1C8A5170
	ds_read_b128 a[72:75], v20 offset:18432                    // 00000000328C: DBFE4800 48000014
	ds_read_b128 a[76:79], v20 offset:19456                    // 000000003294: DBFE4C00 4C000014
	v_mfma_f32_16x16x32_bf16 v[34:37], a[116:119], a[44:47], v[34:37]// 00000000329C: D3B50022 1C8A5974
	ds_read_b128 a[80:83], v20 offset:20480                    // 0000000032A4: DBFE5000 50000014
	ds_read_b128 a[84:87], v20 offset:21504                    // 0000000032AC: DBFE5400 54000014
	v_mfma_f32_16x16x32_bf16 v[34:37], a[120:123], a[48:51], v[34:37]// 0000000032B4: D3B50022 1C8A6178
	ds_read_b128 a[88:91], v20 offset:22528                    // 0000000032BC: DBFE5800 58000014
	ds_read_b128 a[92:95], v20 offset:23552                    // 0000000032C4: DBFE5C00 5C000014
	v_mfma_f32_16x16x32_bf16 v[34:37], a[124:127], a[52:55], v[34:37]// 0000000032CC: D3B50022 1C8A697C
	ds_read_b128 a[96:99], v20 offset:24576                    // 0000000032D4: DBFE6000 60000014
	ds_read_b128 a[100:103], v20 offset:25600                  // 0000000032DC: DBFE6400 64000014
	v_mfma_f32_16x16x32_bf16 v[34:37], a[128:131], a[56:59], v[34:37]// 0000000032E4: D3B50022 1C8A7180
	ds_read_b128 a[104:107], v20 offset:26624                  // 0000000032EC: DBFE6800 68000014
	ds_read_b128 a[108:111], v20 offset:27648                  // 0000000032F4: DBFE6C00 6C000014
	v_mfma_f32_16x16x32_bf16 v[34:37], a[132:135], a[60:63], v[34:37]// 0000000032FC: D3B50022 1C8A7984
	ds_read_b128 a[112:115], v20 offset:28672                  // 000000003304: DBFE7000 70000014
	ds_read_b128 a[116:119], v20 offset:29696                  // 00000000330C: DBFE7400 74000014
	v_mfma_f32_16x16x32_bf16 v[34:37], a[136:139], a[64:67], v[34:37]// 000000003314: D3B50022 1C8A8188
	ds_read_b128 a[120:123], v20 offset:30720                  // 00000000331C: DBFE7800 78000014
	ds_read_b128 a[124:127], v20 offset:31744                  // 000000003324: DBFE7C00 7C000014
	v_mfma_f32_16x16x32_bf16 v[34:37], a[140:143], a[68:71], v[34:37]// 00000000332C: D3B50022 1C8A898C
	ds_read_b128 a[128:131], v20 offset:32768                  // 000000003334: DBFE8000 80000014
	ds_read_b128 a[132:135], v20 offset:33792                  // 00000000333C: DBFE8400 84000014
	ds_read_b128 a[136:139], v20 offset:34816                  // 000000003344: DBFE8800 88000014
	ds_read_b128 a[140:143], v20 offset:35840                  // 00000000334C: DBFE8C00 8C000014
	v_add_u32_e32 v26, s73, v26                                // 000000003354: 68343449
	s_waitcnt lgkmcnt(4)                                       // 000000003358: BF8CC47F
	v_mfma_f32_16x16x32_bf16 v[38:41], a[72:75], a[0:3], 0     // 00000000335C: D3B50026 1A020148
	v_mfma_f32_16x16x32_bf16 v[38:41], a[76:79], a[4:7], v[38:41]// 000000003364: D3B50026 1C9A094C
	v_mfma_f32_16x16x32_bf16 v[38:41], a[80:83], a[8:11], v[38:41]// 00000000336C: D3B50026 1C9A1150
	v_mfma_f32_16x16x32_bf16 v[38:41], a[84:87], a[12:15], v[38:41]// 000000003374: D3B50026 1C9A1954
	v_mfma_f32_16x16x32_bf16 v[38:41], a[88:91], a[16:19], v[38:41]// 00000000337C: D3B50026 1C9A2158
	v_mfma_f32_16x16x32_bf16 v[38:41], a[92:95], a[20:23], v[38:41]// 000000003384: D3B50026 1C9A295C
	s_waitcnt vmcnt(10)                                        // 00000000338C: BF8C0F7A
	s_barrier                                                  // 000000003390: BF8A0000
	v_mfma_f32_16x16x32_bf16 v[38:41], a[96:99], a[24:27], v[38:41]// 000000003394: D3B50026 1C9A3160
	v_mfma_f32_16x16x32_bf16 v[38:41], a[100:103], a[28:31], v[38:41]// 00000000339C: D3B50026 1C9A3964
	ds_read_b128 a[72:75], v21                                 // 0000000033A4: DBFE0000 48000015
	v_mfma_f32_16x16x32_bf16 v[38:41], a[104:107], a[32:35], v[38:41]// 0000000033AC: D3B50026 1C9A4168
	v_mfma_f32_16x16x32_bf16 v[38:41], a[108:111], a[36:39], v[38:41]// 0000000033B4: D3B50026 1C9A496C
	ds_read_b128 a[76:79], v21 offset:1024                     // 0000000033BC: DBFE0400 4C000015
	v_mfma_f32_16x16x32_bf16 v[38:41], a[112:115], a[40:43], v[38:41]// 0000000033C4: D3B50026 1C9A5170
	v_mfma_f32_16x16x32_bf16 v[38:41], a[116:119], a[44:47], v[38:41]// 0000000033CC: D3B50026 1C9A5974
	ds_read_b128 a[80:83], v21 offset:2048                     // 0000000033D4: DBFE0800 50000015
	v_mfma_f32_16x16x32_bf16 v[38:41], a[120:123], a[48:51], v[38:41]// 0000000033DC: D3B50026 1C9A6178
	v_mfma_f32_16x16x32_bf16 v[38:41], a[124:127], a[52:55], v[38:41]// 0000000033E4: D3B50026 1C9A697C
	ds_read_b128 a[84:87], v21 offset:3072                     // 0000000033EC: DBFE0C00 54000015
	v_mfma_f32_16x16x32_bf16 v[38:41], a[128:131], a[56:59], v[38:41]// 0000000033F4: D3B50026 1C9A7180
	v_mfma_f32_16x16x32_bf16 v[38:41], a[132:135], a[60:63], v[38:41]// 0000000033FC: D3B50026 1C9A7984
	ds_read_b128 a[88:91], v21 offset:4096                     // 000000003404: DBFE1000 58000015
	v_mfma_f32_16x16x32_bf16 v[38:41], a[136:139], a[64:67], v[38:41]// 00000000340C: D3B50026 1C9A8188
	v_mfma_f32_16x16x32_bf16 v[38:41], a[140:143], a[68:71], v[38:41]// 000000003414: D3B50026 1C9A898C
	ds_read_b128 a[92:95], v21 offset:5120                     // 00000000341C: DBFE1400 5C000015
	ds_read_b128 a[96:99], v21 offset:6144                     // 000000003424: DBFE1800 60000015
	ds_read_b128 a[100:103], v21 offset:7168                   // 00000000342C: DBFE1C00 64000015
	ds_read_b128 a[104:107], v21 offset:8192                   // 000000003434: DBFE2000 68000015
	ds_read_b128 a[108:111], v21 offset:9216                   // 00000000343C: DBFE2400 6C000015
	ds_read_b128 a[112:115], v21 offset:10240                  // 000000003444: DBFE2800 70000015
	ds_read_b128 a[116:119], v21 offset:11264                  // 00000000344C: DBFE2C00 74000015
	ds_read_b128 a[120:123], v21 offset:12288                  // 000000003454: DBFE3000 78000015
	ds_read_b128 a[124:127], v21 offset:13312                  // 00000000345C: DBFE3400 7C000015
	ds_read_b128 a[128:131], v21 offset:14336                  // 000000003464: DBFE3800 80000015
	ds_read_b128 a[132:135], v21 offset:15360                  // 00000000346C: DBFE3C00 84000015
	ds_read_b128 a[136:139], v21 offset:16384                  // 000000003474: DBFE4000 88000015
	ds_read_b128 a[140:143], v21 offset:17408                  // 00000000347C: DBFE4400 8C000015
	s_cmp_le_i32 s83, s82                                      // 000000003484: BF055253
	s_cbranch_scc1 label_1094                                  // 000000003488: BF850042
	v_mov_b32_e32 v28, s82                                     // 00000000348C: 7E380252
	s_cmp_eq_i32 s81, 1                                        // 000000003490: BF008151
	s_cbranch_scc1 label_0FB0                                  // 000000003494: BF850006
	s_cmp_eq_i32 s81, 2                                        // 000000003498: BF008251
	s_cbranch_scc1 label_0FA8                                  // 00000000349C: BF850002
	v_add_u32_e32 v28, s7, v28                                 // 0000000034A0: 68383807
	s_branch label_0FB0                                        // 0000000034A4: BF820002

00000000000034a8 <label_0FA8>:
	s_lshr_b32 s56, s7, 1                                      // 0000000034A8: 8F388107
	v_add_u32_e32 v28, s56, v28                                // 0000000034AC: 68383838

00000000000034b0 <label_0FB0>:
	s_sub_u32 s56, s83, 31                                     // 0000000034B0: 80B89F53
	v_lshrrev_b32_e32 v18, 4, v0                               // 0000000034B4: 20240084
	v_mul_i32_i24_e32 v18, 4, v18                              // 0000000034B8: 0C242484
	v_add_u32_e32 v18, s56, v18                                // 0000000034BC: 68242438
	v_add_u32_e32 v19, 1, v18                                  // 0000000034C0: 68262481
	v_add_u32_e32 v20, 2, v18                                  // 0000000034C4: 68282482
	v_add_u32_e32 v21, 3, v18                                  // 0000000034C8: 682A2483
	v_mov_b32_e32 v29, 0xff800000                              // 0000000034CC: 7E3A02FF FF800000
	v_cmp_le_u32_e64 s[36:37], v18, v28                        // 0000000034D4: D0CB0024 00023912
	v_add_u32_e32 v18, 16, v18                                 // 0000000034DC: 68242490
	s_nop 0                                                    // 0000000034E0: BF800000
	v_cndmask_b32_e64 v34, v29, v34, s[36:37]                  // 0000000034E4: D1000022 0092451D
	v_cmp_le_u32_e64 s[36:37], v19, v28                        // 0000000034EC: D0CB0024 00023913
	v_add_u32_e32 v19, 16, v19                                 // 0000000034F4: 68262690
	s_nop 0                                                    // 0000000034F8: BF800000
	v_cndmask_b32_e64 v35, v29, v35, s[36:37]                  // 0000000034FC: D1000023 0092471D
	v_cmp_le_u32_e64 s[36:37], v20, v28                        // 000000003504: D0CB0024 00023914
	v_add_u32_e32 v20, 16, v20                                 // 00000000350C: 68282890
	s_nop 0                                                    // 000000003510: BF800000
	v_cndmask_b32_e64 v36, v29, v36, s[36:37]                  // 000000003514: D1000024 0092491D
	v_cmp_le_u32_e64 s[36:37], v21, v28                        // 00000000351C: D0CB0024 00023915
	v_add_u32_e32 v21, 16, v21                                 // 000000003524: 682A2A90
	s_nop 0                                                    // 000000003528: BF800000
	v_cndmask_b32_e64 v37, v29, v37, s[36:37]                  // 00000000352C: D1000025 00924B1D
	v_cmp_le_u32_e64 s[36:37], v18, v28                        // 000000003534: D0CB0024 00023912
	v_add_u32_e32 v18, 16, v18                                 // 00000000353C: 68242490
	s_nop 0                                                    // 000000003540: BF800000
	v_cndmask_b32_e64 v38, v29, v38, s[36:37]                  // 000000003544: D1000026 00924D1D
	v_cmp_le_u32_e64 s[36:37], v19, v28                        // 00000000354C: D0CB0024 00023913
	v_add_u32_e32 v19, 16, v19                                 // 000000003554: 68262690
	s_nop 0                                                    // 000000003558: BF800000
	v_cndmask_b32_e64 v39, v29, v39, s[36:37]                  // 00000000355C: D1000027 00924F1D
	v_cmp_le_u32_e64 s[36:37], v20, v28                        // 000000003564: D0CB0024 00023914
	v_add_u32_e32 v20, 16, v20                                 // 00000000356C: 68282890
	s_nop 0                                                    // 000000003570: BF800000
	v_cndmask_b32_e64 v40, v29, v40, s[36:37]                  // 000000003574: D1000028 0092511D
	v_cmp_le_u32_e64 s[36:37], v21, v28                        // 00000000357C: D0CB0024 00023915
	v_add_u32_e32 v21, 16, v21                                 // 000000003584: 682A2A90
	s_nop 0                                                    // 000000003588: BF800000
	v_cndmask_b32_e64 v41, v29, v41, s[36:37]                  // 00000000358C: D1000029 0092531D

0000000000003594 <label_1094>:
	s_add_u32 s83, s84, s83                                    // 000000003594: 80535354
	s_nop 2                                                    // 000000003598: BF800002
	v_mov_b32_e32 v29, v34                                     // 00000000359C: 7E3A0322
	v_max3_f32 v29, v34, v35, v29                              // 0000000035A0: D1D3001D 04764722
	v_max3_f32 v29, v36, v37, v29                              // 0000000035A8: D1D3001D 04764B24
	v_max3_f32 v29, v38, v39, v29                              // 0000000035B0: D1D3001D 04764F26
	v_max3_f32 v29, v40, v41, v29                              // 0000000035B8: D1D3001D 04765328
	v_mov_b32_e32 v28, v29                                     // 0000000035C0: 7E38031D
	v_mov_b32_e32 v29, v29                                     // 0000000035C4: 7E3A031D
	s_nop 1                                                    // 0000000035C8: BF800001
	v_permlane16_swap_b32_e32 v28, v29                         // 0000000035CC: 7E38B31D
	v_mov_b32_e32 v31, v28                                     // 0000000035D0: 7E3E031C
	v_mov_b32_e32 v30, v29                                     // 0000000035D4: 7E3C031D
	s_nop 1                                                    // 0000000035D8: BF800001
	v_permlane32_swap_b32_e32 v28, v29                         // 0000000035DC: 7E38B51D
	v_permlane32_swap_b32_e32 v30, v31                         // 0000000035E0: 7E3CB51F
	v_max3_f32 v29, v28, v29, v29                              // 0000000035E4: D1D3001D 04763B1C
	v_max3_f32 v29, v30, v31, v29                              // 0000000035EC: D1D3001D 04763F1E
	v_mov_b32_e32 v28, 0xff800000                              // 0000000035F4: 7E3802FF FF800000
	v_cmp_eq_u32_e64 s[36:37], v28, v2                         // 0000000035FC: D0CA0024 0002051C
	v_max_f32_e32 v29, v29, v2                                 // 000000003604: 163A051D
	v_sub_f32_e32 v16, v2, v29                                 // 000000003608: 04203B02
	v_cndmask_b32_e64 v16, v16, 0, s[36:37]                    // 00000000360C: D1000010 00910110
	v_mov_b32_e32 v2, v29                                      // 000000003614: 7E04031D
	v_mul_f32_e32 v29, s5, v29                                 // 000000003618: 0A3A3A05
	v_mul_f32_e32 v16, s5, v16                                 // 00000000361C: 0A202005
	v_exp_f32_e32 v16, v16                                     // 000000003620: 7E204110
	v_fma_f32 v34, v34, s5, -v29                               // 000000003624: D1CB0022 84740B22
	v_fma_f32 v35, v35, s5, -v29                               // 00000000362C: D1CB0023 84740B23
	v_fma_f32 v36, v36, s5, -v29                               // 000000003634: D1CB0024 84740B24
	v_fma_f32 v37, v37, s5, -v29                               // 00000000363C: D1CB0025 84740B25
	v_fma_f32 v38, v38, s5, -v29                               // 000000003644: D1CB0026 84740B26
	v_fma_f32 v39, v39, s5, -v29                               // 00000000364C: D1CB0027 84740B27
	v_fma_f32 v40, v40, s5, -v29                               // 000000003654: D1CB0028 84740B28
	v_fma_f32 v41, v41, s5, -v29                               // 00000000365C: D1CB0029 84740B29
	v_exp_f32_e32 v34, v34                                     // 000000003664: 7E444122
	v_exp_f32_e32 v35, v35                                     // 000000003668: 7E464123
	v_exp_f32_e32 v36, v36                                     // 00000000366C: 7E484124
	v_exp_f32_e32 v37, v37                                     // 000000003670: 7E4A4125
	v_exp_f32_e32 v38, v38                                     // 000000003674: 7E4C4126
	v_exp_f32_e32 v39, v39                                     // 000000003678: 7E4E4127
	v_exp_f32_e32 v40, v40                                     // 00000000367C: 7E504128
	v_exp_f32_e32 v41, v41                                     // 000000003680: 7E524129
	v_mul_f32_e32 v4, v16, v4                                  // 000000003684: 0A080910
	v_mov_b32_e32 v28, v34                                     // 000000003688: 7E380322
	v_add_f32_e32 v28, v35, v28                                // 00000000368C: 02383923
	v_add_f32_e32 v28, v36, v28                                // 000000003690: 02383924
	v_add_f32_e32 v28, v37, v28                                // 000000003694: 02383925
	;; [unrolled: 1-line block ×3, first 2 shown]
	v_add_f32_e32 v28, v39, v28                                // 00000000369C: 02383927
	v_add_f32_e32 v28, v40, v28                                // 0000000036A0: 02383928
	v_add_f32_e32 v28, v41, v28                                // 0000000036A4: 02383929
	v_add_f32_e32 v4, v28, v4                                  // 0000000036A8: 0208091C
	v_cvt_pk_bf16_f32 v34, v34, v35                            // 0000000036AC: D2680022 00024722
	v_cvt_pk_bf16_f32 v35, v36, v37                            // 0000000036B4: D2680023 00024B24
	v_cvt_pk_bf16_f32 v36, v38, v39                            // 0000000036BC: D2680024 00024F26
	v_cvt_pk_bf16_f32 v37, v40, v41                            // 0000000036C4: D2680025 00025328
	s_nop 0                                                    // 0000000036CC: BF800000
	v_permlane32_swap_b32_e32 v34, v36                         // 0000000036D0: 7E44B524
	v_permlane32_swap_b32_e32 v35, v37                         // 0000000036D4: 7E46B525
	s_nop 0                                                    // 0000000036D8: BF800000
	v_permlane16_swap_b32_e32 v34, v36                         // 0000000036DC: 7E44B324
	v_permlane16_swap_b32_e32 v35, v37                         // 0000000036E0: 7E46B325
	s_addk_i32 s70, 0x1                                        // 0000000036E4: B7460001
	s_cmp_eq_u32 s71, s70                                      // 0000000036E8: BF064647
	s_cbranch_scc1 label_610C                                  // 0000000036EC: BF8513C7
	s_waitcnt lgkmcnt(4)                                       // 0000000036F0: BF8CC47F
	v_mfma_f32_16x16x32_bf16 v[42:45], a[72:75], a[0:3], 0     // 0000000036F4: D3B5002A 1A020148
	v_mul_u32_u24_e64 v32, v25, s68                            // 0000000036FC: D1080020 00008919
	v_add_u32_e32 v32, v32, v1                                 // 000000003704: 68400320
	buffer_load_dword v23, v26, s[24:27], 0 offen              // 000000003708: E0501000 8006171A
	v_mfma_f32_16x16x32_bf16 v[42:45], a[76:79], a[4:7], v[42:45]// 000000003710: D3B5002A 1CAA094C
	s_mov_b32 s56, 0xb000                                      // 000000003718: BEB800FF 0000B000
	s_mul_i32 s57, s7, 0x2400                                  // 000000003720: 9239FF07 00002400
	s_add_u32 m0, s56, s57                                     // 000000003728: 807C3938
	buffer_load_dwordx4 v32, s[20:23], 0 offen lds             // 00000000372C: E05D1000 80050020
	s_add_i32 m0, m0, 0x3c0                                    // 000000003734: 817CFF7C 000003C0
	v_mfma_f32_16x16x32_bf16 v[42:45], a[80:83], a[8:11], v[42:45]// 00000000373C: D3B5002A 1CAA1150
	v_mfma_f32_16x16x32_bf16 v[42:45], a[84:87], a[12:15], v[42:45]// 000000003744: D3B5002A 1CAA1954
	buffer_load_dwordx4 v32, s[20:23], 0 offen offset:64 lds   // 00000000374C: E05D1040 80050020
	s_add_i32 m0, m0, 0x3c0                                    // 000000003754: 817CFF7C 000003C0
	v_mfma_f32_16x16x32_bf16 v[42:45], a[88:91], a[16:19], v[42:45]// 00000000375C: D3B5002A 1CAA2158
	ds_read_b128 a[72:75], v21 offset:18432                    // 000000003764: DBFE4800 48000015
	v_mfma_f32_16x16x32_bf16 v[42:45], a[92:95], a[20:23], v[42:45]// 00000000376C: D3B5002A 1CAA295C
	buffer_load_dwordx4 v32, s[20:23], 0 offen offset:128 lds  // 000000003774: E05D1080 80050020
	s_add_i32 m0, m0, 0x3c0                                    // 00000000377C: 817CFF7C 000003C0
	v_mfma_f32_16x16x32_bf16 v[42:45], a[96:99], a[24:27], v[42:45]// 000000003784: D3B5002A 1CAA3160
	ds_read_b128 a[76:79], v21 offset:19456                    // 00000000378C: DBFE4C00 4C000015
	v_mfma_f32_16x16x32_bf16 v[42:45], a[100:103], a[28:31], v[42:45]// 000000003794: D3B5002A 1CAA3964
	buffer_load_dwordx4 v32, s[20:23], 0 offen offset:192 lds  // 00000000379C: E05D10C0 80050020
	s_add_i32 m0, m0, 0x3c0                                    // 0000000037A4: 817CFF7C 000003C0
	v_mfma_f32_16x16x32_bf16 v[42:45], a[104:107], a[32:35], v[42:45]// 0000000037AC: D3B5002A 1CAA4168
	ds_read_b128 a[80:83], v21 offset:20480                    // 0000000037B4: DBFE5000 50000015
	v_mfma_f32_16x16x32_bf16 v[42:45], a[108:111], a[36:39], v[42:45]// 0000000037BC: D3B5002A 1CAA496C
	buffer_load_dwordx4 v32, s[20:23], 0 offen offset:256 lds  // 0000000037C4: E05D1100 80050020
	s_add_i32 m0, m0, 0x3c0                                    // 0000000037CC: 817CFF7C 000003C0
	v_mfma_f32_16x16x32_bf16 v[42:45], a[112:115], a[40:43], v[42:45]// 0000000037D4: D3B5002A 1CAA5170
	ds_read_b128 a[84:87], v21 offset:21504                    // 0000000037DC: DBFE5400 54000015
	v_mfma_f32_16x16x32_bf16 v[42:45], a[116:119], a[44:47], v[42:45]// 0000000037E4: D3B5002A 1CAA5974
	buffer_load_dwordx4 v32, s[20:23], 0 offen offset:320 lds  // 0000000037EC: E05D1140 80050020
	s_add_i32 m0, m0, 0x3c0                                    // 0000000037F4: 817CFF7C 000003C0
	v_mfma_f32_16x16x32_bf16 v[42:45], a[120:123], a[48:51], v[42:45]// 0000000037FC: D3B5002A 1CAA6178
	ds_read_b128 a[88:91], v21 offset:22528                    // 000000003804: DBFE5800 58000015
	v_mfma_f32_16x16x32_bf16 v[42:45], a[124:127], a[52:55], v[42:45]// 00000000380C: D3B5002A 1CAA697C
	buffer_load_dwordx4 v32, s[20:23], 0 offen offset:384 lds  // 000000003814: E05D1180 80050020
	s_add_i32 m0, m0, 0x3c0                                    // 00000000381C: 817CFF7C 000003C0
	v_mfma_f32_16x16x32_bf16 v[42:45], a[128:131], a[56:59], v[42:45]// 000000003824: D3B5002A 1CAA7180
	ds_read_b128 a[92:95], v21 offset:23552                    // 00000000382C: DBFE5C00 5C000015
	v_mfma_f32_16x16x32_bf16 v[42:45], a[132:135], a[60:63], v[42:45]// 000000003834: D3B5002A 1CAA7984
	buffer_load_dwordx4 v32, s[20:23], 0 offen offset:448 lds  // 00000000383C: E05D11C0 80050020
	s_add_i32 m0, m0, 0x3c0                                    // 000000003844: 817CFF7C 000003C0
	v_mfma_f32_16x16x32_bf16 v[42:45], a[136:139], a[64:67], v[42:45]// 00000000384C: D3B5002A 1CAA8188
	ds_read_b128 a[96:99], v21 offset:24576                    // 000000003854: DBFE6000 60000015
	v_mfma_f32_16x16x32_bf16 v[42:45], a[140:143], a[68:71], v[42:45]// 00000000385C: D3B5002A 1CAA898C
	buffer_load_dwordx4 v32, s[20:23], 0 offen offset:512 lds  // 000000003864: E05D1200 80050020
	s_add_i32 m0, m0, 0x3c0                                    // 00000000386C: 817CFF7C 000003C0
	ds_read_b128 a[100:103], v21 offset:25600                  // 000000003874: DBFE6400 64000015
	ds_read_b128 a[104:107], v21 offset:26624                  // 00000000387C: DBFE6800 68000015
	ds_read_b128 a[108:111], v21 offset:27648                  // 000000003884: DBFE6C00 6C000015
	ds_read_b128 a[112:115], v21 offset:28672                  // 00000000388C: DBFE7000 70000015
	ds_read_b128 a[116:119], v21 offset:29696                  // 000000003894: DBFE7400 74000015
	ds_read_b128 a[120:123], v21 offset:30720                  // 00000000389C: DBFE7800 78000015
	ds_read_b128 a[124:127], v21 offset:31744                  // 0000000038A4: DBFE7C00 7C000015
	ds_read_b128 a[128:131], v21 offset:32768                  // 0000000038AC: DBFE8000 80000015
	ds_read_b128 a[132:135], v21 offset:33792                  // 0000000038B4: DBFE8400 84000015
	ds_read_b128 a[136:139], v21 offset:34816                  // 0000000038BC: DBFE8800 88000015
	ds_read_b128 a[140:143], v21 offset:35840                  // 0000000038C4: DBFE8C00 8C000015
	v_add_u32_e32 v26, s73, v26                                // 0000000038CC: 68343449
	s_waitcnt lgkmcnt(4)                                       // 0000000038D0: BF8CC47F
	v_mfma_f32_16x16x32_bf16 v[46:49], a[72:75], a[0:3], 0     // 0000000038D4: D3B5002E 1A020148
	ds_read_b64_tr_b16 a[144:145], v12                         // 0000000038DC: DBC60000 9000000C
	ds_read_b64_tr_b16 a[146:147], v12 offset:256              // 0000000038E4: DBC60100 9200000C
	ds_read_b64_tr_b16 a[148:149], v13                         // 0000000038EC: DBC60000 9400000D
	ds_read_b64_tr_b16 a[150:151], v13 offset:256              // 0000000038F4: DBC60100 9600000D
	v_mfma_f32_16x16x32_bf16 v[46:49], a[76:79], a[4:7], v[46:49]// 0000000038FC: D3B5002E 1CBA094C
	v_mfma_f32_16x16x32_bf16 v[46:49], a[80:83], a[8:11], v[46:49]// 000000003904: D3B5002E 1CBA1150
	ds_read_b64_tr_b16 a[152:153], v12 offset:1024             // 00000000390C: DBC60400 9800000C
	ds_read_b64_tr_b16 a[154:155], v12 offset:1280             // 000000003914: DBC60500 9A00000C
	ds_read_b64_tr_b16 a[156:157], v13 offset:1024             // 00000000391C: DBC60400 9C00000D
	ds_read_b64_tr_b16 a[158:159], v13 offset:1280             // 000000003924: DBC60500 9E00000D
	v_mfma_f32_16x16x32_bf16 v[46:49], a[84:87], a[12:15], v[46:49]// 00000000392C: D3B5002E 1CBA1954
	v_mfma_f32_16x16x32_bf16 v[46:49], a[88:91], a[16:19], v[46:49]// 000000003934: D3B5002E 1CBA2158
	ds_read_b64_tr_b16 a[160:161], v12 offset:2048             // 00000000393C: DBC60800 A000000C
	ds_read_b64_tr_b16 a[162:163], v12 offset:2304             // 000000003944: DBC60900 A200000C
	ds_read_b64_tr_b16 a[164:165], v13 offset:2048             // 00000000394C: DBC60800 A400000D
	ds_read_b64_tr_b16 a[166:167], v13 offset:2304             // 000000003954: DBC60900 A600000D
	v_mfma_f32_16x16x32_bf16 v[46:49], a[92:95], a[20:23], v[46:49]// 00000000395C: D3B5002E 1CBA295C
	v_mfma_f32_16x16x32_bf16 v[46:49], a[96:99], a[24:27], v[46:49]// 000000003964: D3B5002E 1CBA3160
	ds_read_b64_tr_b16 a[168:169], v12 offset:3072             // 00000000396C: DBC60C00 A800000C
	ds_read_b64_tr_b16 a[170:171], v12 offset:3328             // 000000003974: DBC60D00 AA00000C
	ds_read_b64_tr_b16 a[172:173], v13 offset:3072             // 00000000397C: DBC60C00 AC00000D
	ds_read_b64_tr_b16 a[174:175], v13 offset:3328             // 000000003984: DBC60D00 AE00000D
	v_mfma_f32_16x16x32_bf16 v[46:49], a[100:103], a[28:31], v[46:49]// 00000000398C: D3B5002E 1CBA3964
	v_mfma_f32_16x16x32_bf16 v[46:49], a[104:107], a[32:35], v[46:49]// 000000003994: D3B5002E 1CBA4168
	ds_read_b64_tr_b16 a[176:177], v12 offset:4096             // 00000000399C: DBC61000 B000000C
	ds_read_b64_tr_b16 a[178:179], v12 offset:4352             // 0000000039A4: DBC61100 B200000C
	ds_read_b64_tr_b16 a[180:181], v13 offset:4096             // 0000000039AC: DBC61000 B400000D
	ds_read_b64_tr_b16 a[182:183], v13 offset:4352             // 0000000039B4: DBC61100 B600000D
	v_mfma_f32_16x16x32_bf16 v[46:49], a[108:111], a[36:39], v[46:49]// 0000000039BC: D3B5002E 1CBA496C
	v_mfma_f32_16x16x32_bf16 v[46:49], a[112:115], a[40:43], v[46:49]// 0000000039C4: D3B5002E 1CBA5170
	ds_read_b64_tr_b16 a[184:185], v12 offset:5120             // 0000000039CC: DBC61400 B800000C
	ds_read_b64_tr_b16 a[186:187], v12 offset:5376             // 0000000039D4: DBC61500 BA00000C
	ds_read_b64_tr_b16 a[188:189], v13 offset:5120             // 0000000039DC: DBC61400 BC00000D
	ds_read_b64_tr_b16 a[190:191], v13 offset:5376             // 0000000039E4: DBC61500 BE00000D
	v_mfma_f32_16x16x32_bf16 v[46:49], a[116:119], a[44:47], v[46:49]// 0000000039EC: D3B5002E 1CBA5974
	v_mfma_f32_16x16x32_bf16 v[46:49], a[120:123], a[48:51], v[46:49]// 0000000039F4: D3B5002E 1CBA6178
	ds_read_b64_tr_b16 a[192:193], v12 offset:6144             // 0000000039FC: DBC61800 C000000C
	ds_read_b64_tr_b16 a[194:195], v12 offset:6400             // 000000003A04: DBC61900 C200000C
	ds_read_b64_tr_b16 a[196:197], v13 offset:6144             // 000000003A0C: DBC61800 C400000D
	ds_read_b64_tr_b16 a[198:199], v13 offset:6400             // 000000003A14: DBC61900 C600000D
	v_mfma_f32_16x16x32_bf16 v[46:49], a[124:127], a[52:55], v[46:49]// 000000003A1C: D3B5002E 1CBA697C
	v_mfma_f32_16x16x32_bf16 v[46:49], a[128:131], a[56:59], v[46:49]// 000000003A24: D3B5002E 1CBA7180
	ds_read_b64_tr_b16 a[200:201], v12 offset:7168             // 000000003A2C: DBC61C00 C800000C
	ds_read_b64_tr_b16 a[202:203], v12 offset:7424             // 000000003A34: DBC61D00 CA00000C
	ds_read_b64_tr_b16 a[204:205], v13 offset:7168             // 000000003A3C: DBC61C00 CC00000D
	ds_read_b64_tr_b16 a[206:207], v13 offset:7424             // 000000003A44: DBC61D00 CE00000D
	v_mfma_f32_16x16x32_bf16 v[46:49], a[132:135], a[60:63], v[46:49]// 000000003A4C: D3B5002E 1CBA7984
	v_mfma_f32_16x16x32_bf16 v[46:49], a[136:139], a[64:67], v[46:49]// 000000003A54: D3B5002E 1CBA8188
	v_mfma_f32_16x16x32_bf16 v[46:49], a[140:143], a[68:71], v[46:49]// 000000003A5C: D3B5002E 1CBA898C
	s_addk_i32 s70, 0x1                                        // 000000003A64: B7460001
	s_cmp_eq_u32 s71, s70                                      // 000000003A68: BF064647
	s_cbranch_scc1 label_6414                                  // 000000003A6C: BF8513A9
	s_cmp_lt_i32 s7, 2                                         // 000000003A70: BF048207
	s_cbranch_scc0 label_3B48                                  // 000000003A74: BF840974

0000000000003a78 <label_1578>:
	s_waitcnt lgkmcnt(0)                                       // 000000003A78: BF8CC07F
	v_mul_u32_u24_e64 v32, v22, s68                            // 000000003A7C: D1080020 00008916
	v_add_u32_e32 v32, v32, v1                                 // 000000003A84: 68400320
	v_mfma_f32_16x16x32_bf16 v[50:53], a[144:147], v[34:37], v[50:53]// 000000003A88: D3B50032 0CCA4590
	v_mov_b32_e32 v29, v42                                     // 000000003A90: 7E3A032A
	v_max3_f32 v29, v42, v43, v29                              // 000000003A94: D1D3001D 0476572A
	v_mfma_f32_16x16x32_bf16 v[54:57], a[148:151], v[34:37], v[54:57]// 000000003A9C: D3B50036 0CDA4594
	ds_read_b64_tr_b16 a[144:145], v12 offset:8192             // 000000003AA4: DBC62000 9000000C
	ds_read_b64_tr_b16 a[146:147], v12 offset:8448             // 000000003AAC: DBC62100 9200000C
	v_mfma_f32_16x16x32_bf16 v[58:61], a[152:155], v[34:37], v[58:61]// 000000003AB4: D3B5003A 0CEA4598
	v_max3_f32 v29, v44, v45, v29                              // 000000003ABC: D1D3001D 04765B2C
	v_max3_f32 v29, v46, v47, v29                              // 000000003AC4: D1D3001D 04765F2E
	v_mfma_f32_16x16x32_bf16 v[62:65], a[156:159], v[34:37], v[62:65]// 000000003ACC: D3B5003E 0CFA459C
	ds_read_b64_tr_b16 a[148:149], v13 offset:8192             // 000000003AD4: DBC62000 9400000D
	ds_read_b64_tr_b16 a[150:151], v13 offset:8448             // 000000003ADC: DBC62100 9600000D
	v_mfma_f32_16x16x32_bf16 v[66:69], a[160:163], v[34:37], v[66:69]// 000000003AE4: D3B50042 0D0A45A0
	v_max3_f32 v29, v48, v49, v29                              // 000000003AEC: D1D3001D 04766330
	v_mov_b32_e32 v28, v29                                     // 000000003AF4: 7E38031D
	v_mfma_f32_16x16x32_bf16 v[70:73], a[164:167], v[34:37], v[70:73]// 000000003AF8: D3B50046 0D1A45A4
	ds_read_b64_tr_b16 a[152:153], v12 offset:9216             // 000000003B00: DBC62400 9800000C
	ds_read_b64_tr_b16 a[154:155], v12 offset:9472             // 000000003B08: DBC62500 9A00000C
	v_mfma_f32_16x16x32_bf16 v[74:77], a[168:171], v[34:37], v[74:77]// 000000003B10: D3B5004A 0D2A45A8
	v_mov_b32_e32 v29, v29                                     // 000000003B18: 7E3A031D
	s_nop 1                                                    // 000000003B1C: BF800001
	v_mfma_f32_16x16x32_bf16 v[78:81], a[172:175], v[34:37], v[78:81]// 000000003B20: D3B5004E 0D3A45AC
	ds_read_b64_tr_b16 a[156:157], v13 offset:9216             // 000000003B28: DBC62400 9C00000D
	ds_read_b64_tr_b16 a[158:159], v13 offset:9472             // 000000003B30: DBC62500 9E00000D
	v_mfma_f32_16x16x32_bf16 v[82:85], a[176:179], v[34:37], v[82:85]// 000000003B38: D3B50052 0D4A45B0
	v_permlane16_swap_b32_e32 v28, v29                         // 000000003B40: 7E38B31D
	v_mfma_f32_16x16x32_bf16 v[86:89], a[180:183], v[34:37], v[86:89]// 000000003B44: D3B50056 0D5A45B4
	ds_read_b64_tr_b16 a[160:161], v12 offset:10240            // 000000003B4C: DBC62800 A000000C
	ds_read_b64_tr_b16 a[162:163], v12 offset:10496            // 000000003B54: DBC62900 A200000C
	v_mfma_f32_16x16x32_bf16 v[90:93], a[184:187], v[34:37], v[90:93]// 000000003B5C: D3B5005A 0D6A45B8
	v_mov_b32_e32 v31, v28                                     // 000000003B64: 7E3E031C
	v_mov_b32_e32 v30, v29                                     // 000000003B68: 7E3C031D
	v_mfma_f32_16x16x32_bf16 v[94:97], a[188:191], v[34:37], v[94:97]// 000000003B6C: D3B5005E 0D7A45BC
	ds_read_b64_tr_b16 a[164:165], v13 offset:10240            // 000000003B74: DBC62800 A400000D
	ds_read_b64_tr_b16 a[166:167], v13 offset:10496            // 000000003B7C: DBC62900 A600000D
	v_mfma_f32_16x16x32_bf16 v[98:101], a[192:195], v[34:37], v[98:101]// 000000003B84: D3B50062 0D8A45C0
	s_nop 1                                                    // 000000003B8C: BF800001
	v_permlane32_swap_b32_e32 v28, v29                         // 000000003B90: 7E38B51D
	v_mfma_f32_16x16x32_bf16 v[102:105], a[196:199], v[34:37], v[102:105]// 000000003B94: D3B50066 0D9A45C4
	ds_read_b64_tr_b16 a[168:169], v12 offset:11264            // 000000003B9C: DBC62C00 A800000C
	ds_read_b64_tr_b16 a[170:171], v12 offset:11520            // 000000003BA4: DBC62D00 AA00000C
	v_mfma_f32_16x16x32_bf16 v[106:109], a[200:203], v[34:37], v[106:109]// 000000003BAC: D3B5006A 0DAA45C8
	v_permlane32_swap_b32_e32 v30, v31                         // 000000003BB4: 7E3CB51F
	v_mfma_f32_16x16x32_bf16 v[110:113], a[204:207], v[34:37], v[110:113]// 000000003BB8: D3B5006E 0DBA45CC
	ds_read_b64_tr_b16 a[172:173], v13 offset:11264            // 000000003BC0: DBC62C00 AC00000D
	ds_read_b64_tr_b16 a[174:175], v13 offset:11520            // 000000003BC8: DBC62D00 AE00000D
	ds_read_b64_tr_b16 a[176:177], v12 offset:12288            // 000000003BD0: DBC63000 B000000C
	ds_read_b64_tr_b16 a[178:179], v12 offset:12544            // 000000003BD8: DBC63100 B200000C
	ds_read_b64_tr_b16 a[180:181], v13 offset:12288            // 000000003BE0: DBC63000 B400000D
	ds_read_b64_tr_b16 a[182:183], v13 offset:12544            // 000000003BE8: DBC63100 B600000D
	ds_read_b64_tr_b16 a[184:185], v12 offset:13312            // 000000003BF0: DBC63400 B800000C
	ds_read_b64_tr_b16 a[186:187], v12 offset:13568            // 000000003BF8: DBC63500 BA00000C
	ds_read_b64_tr_b16 a[188:189], v13 offset:13312            // 000000003C00: DBC63400 BC00000D
	ds_read_b64_tr_b16 a[190:191], v13 offset:13568            // 000000003C08: DBC63500 BE00000D
	s_waitcnt lgkmcnt(0)                                       // 000000003C10: BF8CC07F
	v_mfma_f32_16x16x32_bf16 v[114:117], a[144:147], v[34:37], v[114:117]// 000000003C14: D3B50072 0DCA4590
	ds_read_b64_tr_b16 a[192:193], v12 offset:14336            // 000000003C1C: DBC63800 C000000C
	ds_read_b64_tr_b16 a[194:195], v12 offset:14592            // 000000003C24: DBC63900 C200000C
	v_mfma_f32_16x16x32_bf16 v[118:121], a[148:151], v[34:37], v[118:121]// 000000003C2C: D3B50076 0DDA4594
	s_waitcnt vmcnt(10)                                        // 000000003C34: BF8C0F7A
	s_barrier                                                  // 000000003C38: BF8A0000
	ds_read_b128 a[72:75], v18                                 // 000000003C3C: DBFE0000 48000012
	ds_read_b128 a[76:79], v18 offset:1024                     // 000000003C44: DBFE0400 4C000012
	v_mfma_f32_16x16x32_bf16 v[122:125], a[152:155], v[34:37], v[122:125]// 000000003C4C: D3B5007A 0DEA4598
	ds_read_b64_tr_b16 a[196:197], v13 offset:14336            // 000000003C54: DBC63800 C400000D
	ds_read_b64_tr_b16 a[198:199], v13 offset:14592            // 000000003C5C: DBC63900 C600000D
	v_mfma_f32_16x16x32_bf16 v[126:129], a[156:159], v[34:37], v[126:129]// 000000003C64: D3B5007E 0DFA459C
	ds_read_b128 a[80:83], v18 offset:2048                     // 000000003C6C: DBFE0800 50000012
	ds_read_b128 a[84:87], v18 offset:3072                     // 000000003C74: DBFE0C00 54000012
	v_mfma_f32_16x16x32_bf16 v[130:133], a[160:163], v[34:37], v[130:133]// 000000003C7C: D3B50082 0E0A45A0
	ds_read_b64_tr_b16 a[200:201], v12 offset:15360            // 000000003C84: DBC63C00 C800000C
	ds_read_b64_tr_b16 a[202:203], v12 offset:15616            // 000000003C8C: DBC63D00 CA00000C
	v_mfma_f32_16x16x32_bf16 v[134:137], a[164:167], v[34:37], v[134:137]// 000000003C94: D3B50086 0E1A45A4
	ds_read_b128 a[88:91], v18 offset:4096                     // 000000003C9C: DBFE1000 58000012
	ds_read_b128 a[92:95], v18 offset:5120                     // 000000003CA4: DBFE1400 5C000012
	v_mfma_f32_16x16x32_bf16 v[138:141], a[168:171], v[34:37], v[138:141]// 000000003CAC: D3B5008A 0E2A45A8
	ds_read_b64_tr_b16 a[204:205], v13 offset:15360            // 000000003CB4: DBC63C00 CC00000D
	ds_read_b64_tr_b16 a[206:207], v13 offset:15616            // 000000003CBC: DBC63D00 CE00000D
	v_mfma_f32_16x16x32_bf16 v[142:145], a[172:175], v[34:37], v[142:145]// 000000003CC4: D3B5008E 0E3A45AC
	ds_read_b128 a[96:99], v18 offset:6144                     // 000000003CCC: DBFE1800 60000012
	ds_read_b128 a[100:103], v18 offset:7168                   // 000000003CD4: DBFE1C00 64000012
	v_mfma_f32_16x16x32_bf16 v[146:149], a[176:179], v[34:37], v[146:149]// 000000003CDC: D3B50092 0E4A45B0
	v_max3_f32 v29, v28, v29, v29                              // 000000003CE4: D1D3001D 04763B1C
	v_max3_f32 v29, v30, v31, v29                              // 000000003CEC: D1D3001D 04763F1E
	v_mfma_f32_16x16x32_bf16 v[150:153], a[180:183], v[34:37], v[150:153]// 000000003CF4: D3B50096 0E5A45B4
	ds_read_b128 a[104:107], v18 offset:8192                   // 000000003CFC: DBFE2000 68000012
	ds_read_b128 a[108:111], v18 offset:9216                   // 000000003D04: DBFE2400 6C000012
	v_mfma_f32_16x16x32_bf16 v[154:157], a[184:187], v[34:37], v[154:157]// 000000003D0C: D3B5009A 0E6A45B8
	v_mov_b32_e32 v28, 0xff800000                              // 000000003D14: 7E3802FF FF800000
	v_cmp_eq_u32_e64 s[36:37], v28, v2                         // 000000003D1C: D0CA0024 0002051C
	v_mfma_f32_16x16x32_bf16 v[158:161], a[188:191], v[34:37], v[158:161]// 000000003D24: D3B5009E 0E7A45BC
	ds_read_b128 a[112:115], v18 offset:10240                  // 000000003D2C: DBFE2800 70000012
	ds_read_b128 a[116:119], v18 offset:11264                  // 000000003D34: DBFE2C00 74000012
	v_mfma_f32_16x16x32_bf16 v[162:165], a[192:195], v[34:37], v[162:165]// 000000003D3C: D3B500A2 0E8A45C0
	v_max_f32_e32 v29, v29, v2                                 // 000000003D44: 163A051D
	v_sub_f32_e32 v16, v2, v29                                 // 000000003D48: 04203B02
	v_mfma_f32_16x16x32_bf16 v[166:169], a[196:199], v[34:37], v[166:169]// 000000003D4C: D3B500A6 0E9A45C4
	ds_read_b128 a[120:123], v18 offset:12288                  // 000000003D54: DBFE3000 78000012
	ds_read_b128 a[124:127], v18 offset:13312                  // 000000003D5C: DBFE3400 7C000012
	v_mfma_f32_16x16x32_bf16 v[170:173], a[200:203], v[34:37], v[170:173]// 000000003D64: D3B500AA 0EAA45C8
	v_cndmask_b32_e64 v16, v16, 0, s[36:37]                    // 000000003D6C: D1000010 00910110
	v_mov_b32_e32 v2, v29                                      // 000000003D74: 7E04031D
	v_mfma_f32_16x16x32_bf16 v[174:177], a[204:207], v[34:37], v[174:177]// 000000003D78: D3B500AE 0EBA45CC
	ds_read_b128 a[128:131], v18 offset:14336                  // 000000003D80: DBFE3800 80000012
	ds_read_b128 a[132:135], v18 offset:15360                  // 000000003D88: DBFE3C00 84000012
	ds_read_b128 a[136:139], v18 offset:16384                  // 000000003D90: DBFE4000 88000012
	ds_read_b128 a[140:143], v18 offset:17408                  // 000000003D98: DBFE4400 8C000012
	s_waitcnt lgkmcnt(0)                                       // 000000003DA0: BF8CC07F
	v_mfma_f32_16x16x32_bf16 v[34:37], a[72:75], a[0:3], 0     // 000000003DA4: D3B50022 1A020148
	buffer_load_dword v24, v26, s[24:27], 0 offen              // 000000003DAC: E0501000 8006181A
	v_mul_f32_e32 v29, s5, v29                                 // 000000003DB4: 0A3A3A05
	s_mov_b32 s56, 0x14000                                     // 000000003DB8: BEB800FF 00014000
	s_mul_i32 s57, s7, 0x2400                                  // 000000003DC0: 9239FF07 00002400
	s_add_u32 m0, s56, s57                                     // 000000003DC8: 807C3938
	buffer_load_dwordx4 v32, s[20:23], 0 offen lds             // 000000003DCC: E05D1000 80050020
	s_add_i32 m0, m0, 0x3c0                                    // 000000003DD4: 817CFF7C 000003C0
	v_mfma_f32_16x16x32_bf16 v[34:37], a[76:79], a[4:7], v[34:37]// 000000003DDC: D3B50022 1C8A094C
	buffer_load_dwordx4 v32, s[20:23], 0 offen offset:64 lds   // 000000003DE4: E05D1040 80050020
	s_add_i32 m0, m0, 0x3c0                                    // 000000003DEC: 817CFF7C 000003C0
	v_mfma_f32_16x16x32_bf16 v[34:37], a[80:83], a[8:11], v[34:37]// 000000003DF4: D3B50022 1C8A1150
	v_mul_f32_e32 v16, s5, v16                                 // 000000003DFC: 0A202005
	v_exp_f32_e32 v16, v16                                     // 000000003E00: 7E204110
	v_mfma_f32_16x16x32_bf16 v[34:37], a[84:87], a[12:15], v[34:37]// 000000003E04: D3B50022 1C8A1954
	v_add_u32_e32 v26, s73, v26                                // 000000003E0C: 68343449
	ds_read_b128 a[72:75], v18 offset:18432                    // 000000003E10: DBFE4800 48000012
	ds_read_b128 a[76:79], v18 offset:19456                    // 000000003E18: DBFE4C00 4C000012
	v_fma_f32 v42, v42, s5, -v29                               // 000000003E20: D1CB002A 84740B2A
	v_mfma_f32_16x16x32_bf16 v[34:37], a[88:91], a[16:19], v[34:37]// 000000003E28: D3B50022 1C8A2158
	ds_read_b128 a[80:83], v18 offset:20480                    // 000000003E30: DBFE5000 50000012
	ds_read_b128 a[84:87], v18 offset:21504                    // 000000003E38: DBFE5400 54000012
	v_fma_f32 v43, v43, s5, -v29                               // 000000003E40: D1CB002B 84740B2B
	v_mfma_f32_16x16x32_bf16 v[34:37], a[92:95], a[20:23], v[34:37]// 000000003E48: D3B50022 1C8A295C
	buffer_load_dwordx4 v32, s[20:23], 0 offen offset:128 lds  // 000000003E50: E05D1080 80050020
	s_add_i32 m0, m0, 0x3c0                                    // 000000003E58: 817CFF7C 000003C0
	v_mfma_f32_16x16x32_bf16 v[34:37], a[96:99], a[24:27], v[34:37]// 000000003E60: D3B50022 1C8A3160
	v_fma_f32 v44, v44, s5, -v29                               // 000000003E68: D1CB002C 84740B2C
	v_fma_f32 v45, v45, s5, -v29                               // 000000003E70: D1CB002D 84740B2D
	v_mfma_f32_16x16x32_bf16 v[34:37], a[100:103], a[28:31], v[34:37]// 000000003E78: D3B50022 1C8A3964
	ds_read_b128 a[88:91], v18 offset:22528                    // 000000003E80: DBFE5800 58000012
	ds_read_b128 a[92:95], v18 offset:23552                    // 000000003E88: DBFE5C00 5C000012
	v_fma_f32 v46, v46, s5, -v29                               // 000000003E90: D1CB002E 84740B2E
	v_mfma_f32_16x16x32_bf16 v[34:37], a[104:107], a[32:35], v[34:37]// 000000003E98: D3B50022 1C8A4168
	ds_read_b128 a[96:99], v18 offset:24576                    // 000000003EA0: DBFE6000 60000012
	ds_read_b128 a[100:103], v18 offset:25600                  // 000000003EA8: DBFE6400 64000012
	v_fma_f32 v47, v47, s5, -v29                               // 000000003EB0: D1CB002F 84740B2F
	v_mfma_f32_16x16x32_bf16 v[34:37], a[108:111], a[36:39], v[34:37]// 000000003EB8: D3B50022 1C8A496C
	buffer_load_dwordx4 v32, s[20:23], 0 offen offset:192 lds  // 000000003EC0: E05D10C0 80050020
	s_add_i32 m0, m0, 0x3c0                                    // 000000003EC8: 817CFF7C 000003C0
	v_mfma_f32_16x16x32_bf16 v[34:37], a[112:115], a[40:43], v[34:37]// 000000003ED0: D3B50022 1C8A5170
	v_fma_f32 v48, v48, s5, -v29                               // 000000003ED8: D1CB0030 84740B30
	v_fma_f32 v49, v49, s5, -v29                               // 000000003EE0: D1CB0031 84740B31
	v_mfma_f32_16x16x32_bf16 v[34:37], a[116:119], a[44:47], v[34:37]// 000000003EE8: D3B50022 1C8A5974
	v_exp_f32_e32 v42, v42                                     // 000000003EF0: 7E54412A
	v_mfma_f32_16x16x32_bf16 v[34:37], a[120:123], a[48:51], v[34:37]// 000000003EF4: D3B50022 1C8A6178
	ds_read_b128 a[104:107], v18 offset:26624                  // 000000003EFC: DBFE6800 68000012
	ds_read_b128 a[108:111], v18 offset:27648                  // 000000003F04: DBFE6C00 6C000012
	v_exp_f32_e32 v43, v43                                     // 000000003F0C: 7E56412B
	v_mfma_f32_16x16x32_bf16 v[34:37], a[124:127], a[52:55], v[34:37]// 000000003F10: D3B50022 1C8A697C
	buffer_load_dwordx4 v32, s[20:23], 0 offen offset:256 lds  // 000000003F18: E05D1100 80050020
	s_add_i32 m0, m0, 0x3c0                                    // 000000003F20: 817CFF7C 000003C0
	v_mfma_f32_16x16x32_bf16 v[34:37], a[128:131], a[56:59], v[34:37]// 000000003F28: D3B50022 1C8A7180
	v_exp_f32_e32 v44, v44                                     // 000000003F30: 7E58412C
	v_mfma_f32_16x16x32_bf16 v[34:37], a[132:135], a[60:63], v[34:37]// 000000003F34: D3B50022 1C8A7984
	ds_read_b128 a[112:115], v18 offset:28672                  // 000000003F3C: DBFE7000 70000012
	ds_read_b128 a[116:119], v18 offset:29696                  // 000000003F44: DBFE7400 74000012
	v_exp_f32_e32 v45, v45                                     // 000000003F4C: 7E5A412D
	v_mfma_f32_16x16x32_bf16 v[34:37], a[136:139], a[64:67], v[34:37]// 000000003F50: D3B50022 1C8A8188
	ds_read_b128 a[120:123], v18 offset:30720                  // 000000003F58: DBFE7800 78000012
	ds_read_b128 a[124:127], v18 offset:31744                  // 000000003F60: DBFE7C00 7C000012
	v_exp_f32_e32 v46, v46                                     // 000000003F68: 7E5C412E
	v_mfma_f32_16x16x32_bf16 v[34:37], a[140:143], a[68:71], v[34:37]// 000000003F6C: D3B50022 1C8A898C
	ds_read_b128 a[128:131], v18 offset:32768                  // 000000003F74: DBFE8000 80000012
	ds_read_b128 a[132:135], v18 offset:33792                  // 000000003F7C: DBFE8400 84000012
	v_exp_f32_e32 v47, v47                                     // 000000003F84: 7E5E412F
	ds_read_b128 a[136:139], v18 offset:34816                  // 000000003F88: DBFE8800 88000012
	ds_read_b128 a[140:143], v18 offset:35840                  // 000000003F90: DBFE8C00 8C000012
	v_exp_f32_e32 v48, v48                                     // 000000003F98: 7E604130
	v_exp_f32_e32 v49, v49                                     // 000000003F9C: 7E624131
	v_mul_f32_e32 v4, v16, v4                                  // 000000003FA0: 0A080910
	v_mov_b32_e32 v28, v42                                     // 000000003FA4: 7E38032A
	v_add_f32_e32 v28, v43, v28                                // 000000003FA8: 0238392B
	v_add_f32_e32 v28, v44, v28                                // 000000003FAC: 0238392C
	v_add_f32_e32 v28, v45, v28                                // 000000003FB0: 0238392D
	v_add_f32_e32 v28, v46, v28                                // 000000003FB4: 0238392E
	v_add_f32_e32 v28, v47, v28                                // 000000003FB8: 0238392F
	v_add_f32_e32 v28, v48, v28                                // 000000003FBC: 02383930
	v_add_f32_e32 v28, v49, v28                                // 000000003FC0: 02383931
	v_add_f32_e32 v4, v28, v4                                  // 000000003FC4: 0208091C
	v_cvt_pk_bf16_f32 v42, v42, v43                            // 000000003FC8: D268002A 0002572A
	v_cvt_pk_bf16_f32 v43, v44, v45                            // 000000003FD0: D268002B 00025B2C
	v_cvt_pk_bf16_f32 v44, v46, v47                            // 000000003FD8: D268002C 00025F2E
	v_cvt_pk_bf16_f32 v45, v48, v49                            // 000000003FE0: D268002D 00026330
	s_nop 0                                                    // 000000003FE8: BF800000
	v_permlane32_swap_b32_e32 v42, v44                         // 000000003FEC: 7E54B52C
	v_permlane32_swap_b32_e32 v43, v45                         // 000000003FF0: 7E56B52D
	s_nop 0                                                    // 000000003FF4: BF800000
	v_permlane16_swap_b32_e32 v42, v44                         // 000000003FF8: 7E54B32C
	v_permlane16_swap_b32_e32 v43, v45                         // 000000003FFC: 7E56B32D
	s_waitcnt lgkmcnt(0)                                       // 000000004000: BF8CC07F
	v_mfma_f32_16x16x32_bf16 v[38:41], a[72:75], a[0:3], 0     // 000000004004: D3B50026 1A020148
	v_mul_f32_e32 v50, v16, v50                                // 00000000400C: 0A646510
	v_mul_f32_e32 v51, v16, v51                                // 000000004010: 0A666710
	ds_read_b64_tr_b16 a[144:145], v14                         // 000000004014: DBC60000 9000000E
	ds_read_b64_tr_b16 a[146:147], v14 offset:256              // 00000000401C: DBC60100 9200000E
	v_mfma_f32_16x16x32_bf16 v[38:41], a[76:79], a[4:7], v[38:41]// 000000004024: D3B50026 1C9A094C
	buffer_load_dwordx4 v32, s[20:23], 0 offen offset:320 lds  // 00000000402C: E05D1140 80050020
	s_add_i32 m0, m0, 0x3c0                                    // 000000004034: 817CFF7C 000003C0
	v_mul_f32_e32 v52, v16, v52                                // 00000000403C: 0A686910
	v_mul_f32_e32 v53, v16, v53                                // 000000004040: 0A6A6B10
	v_mfma_f32_16x16x32_bf16 v[38:41], a[80:83], a[8:11], v[38:41]// 000000004044: D3B50026 1C9A1150
	v_mul_f32_e32 v54, v16, v54                                // 00000000404C: 0A6C6D10
	v_mul_f32_e32 v55, v16, v55                                // 000000004050: 0A6E6F10
	ds_read_b64_tr_b16 a[148:149], v15                         // 000000004054: DBC60000 9400000F
	ds_read_b64_tr_b16 a[150:151], v15 offset:256              // 00000000405C: DBC60100 9600000F
	v_mfma_f32_16x16x32_bf16 v[38:41], a[84:87], a[12:15], v[38:41]// 000000004064: D3B50026 1C9A1954
	v_mul_f32_e32 v56, v16, v56                                // 00000000406C: 0A707110
	v_mul_f32_e32 v57, v16, v57                                // 000000004070: 0A727310
	ds_read_b64_tr_b16 a[152:153], v14 offset:1024             // 000000004074: DBC60400 9800000E
	ds_read_b64_tr_b16 a[154:155], v14 offset:1280             // 00000000407C: DBC60500 9A00000E
	v_mfma_f32_16x16x32_bf16 v[38:41], a[88:91], a[16:19], v[38:41]// 000000004084: D3B50026 1C9A2158
	v_mul_f32_e32 v58, v16, v58                                // 00000000408C: 0A747510
	v_mul_f32_e32 v59, v16, v59                                // 000000004090: 0A767710
	ds_read_b64_tr_b16 a[156:157], v15 offset:1024             // 000000004094: DBC60400 9C00000F
	ds_read_b64_tr_b16 a[158:159], v15 offset:1280             // 00000000409C: DBC60500 9E00000F
	v_mfma_f32_16x16x32_bf16 v[38:41], a[92:95], a[20:23], v[38:41]// 0000000040A4: D3B50026 1C9A295C
	v_mul_f32_e32 v60, v16, v60                                // 0000000040AC: 0A787910
	v_mul_f32_e32 v61, v16, v61                                // 0000000040B0: 0A7A7B10
	ds_read_b64_tr_b16 a[160:161], v14 offset:2048             // 0000000040B4: DBC60800 A000000E
	ds_read_b64_tr_b16 a[162:163], v14 offset:2304             // 0000000040BC: DBC60900 A200000E
	v_mfma_f32_16x16x32_bf16 v[38:41], a[96:99], a[24:27], v[38:41]// 0000000040C4: D3B50026 1C9A3160
	v_mul_f32_e32 v62, v16, v62                                // 0000000040CC: 0A7C7D10
	v_mul_f32_e32 v63, v16, v63                                // 0000000040D0: 0A7E7F10
	ds_read_b64_tr_b16 a[164:165], v15 offset:2048             // 0000000040D4: DBC60800 A400000F
	ds_read_b64_tr_b16 a[166:167], v15 offset:2304             // 0000000040DC: DBC60900 A600000F
	v_mfma_f32_16x16x32_bf16 v[38:41], a[100:103], a[28:31], v[38:41]// 0000000040E4: D3B50026 1C9A3964
	buffer_load_dwordx4 v32, s[20:23], 0 offen offset:384 lds  // 0000000040EC: E05D1180 80050020
	s_add_i32 m0, m0, 0x3c0                                    // 0000000040F4: 817CFF7C 000003C0
	v_mfma_f32_16x16x32_bf16 v[38:41], a[104:107], a[32:35], v[38:41]// 0000000040FC: D3B50026 1C9A4168
	v_mul_f32_e32 v64, v16, v64                                // 000000004104: 0A808110
	v_mul_f32_e32 v65, v16, v65                                // 000000004108: 0A828310
	ds_read_b64_tr_b16 a[168:169], v14 offset:3072             // 00000000410C: DBC60C00 A800000E
	ds_read_b64_tr_b16 a[170:171], v14 offset:3328             // 000000004114: DBC60D00 AA00000E
	v_mfma_f32_16x16x32_bf16 v[38:41], a[108:111], a[36:39], v[38:41]// 00000000411C: D3B50026 1C9A496C
	v_mul_f32_e32 v66, v16, v66                                // 000000004124: 0A848510
	v_mul_f32_e32 v67, v16, v67                                // 000000004128: 0A868710
	ds_read_b64_tr_b16 a[172:173], v15 offset:3072             // 00000000412C: DBC60C00 AC00000F
	ds_read_b64_tr_b16 a[174:175], v15 offset:3328             // 000000004134: DBC60D00 AE00000F
	v_mfma_f32_16x16x32_bf16 v[38:41], a[112:115], a[40:43], v[38:41]// 00000000413C: D3B50026 1C9A5170
	v_mul_f32_e32 v68, v16, v68                                // 000000004144: 0A888910
	v_mul_f32_e32 v69, v16, v69                                // 000000004148: 0A8A8B10
	ds_read_b64_tr_b16 a[176:177], v14 offset:4096             // 00000000414C: DBC61000 B000000E
	ds_read_b64_tr_b16 a[178:179], v14 offset:4352             // 000000004154: DBC61100 B200000E
	v_mfma_f32_16x16x32_bf16 v[38:41], a[116:119], a[44:47], v[38:41]// 00000000415C: D3B50026 1C9A5974
	buffer_load_dwordx4 v32, s[20:23], 0 offen offset:448 lds  // 000000004164: E05D11C0 80050020
	s_add_i32 m0, m0, 0x3c0                                    // 00000000416C: 817CFF7C 000003C0
	v_mul_f32_e32 v70, v16, v70                                // 000000004174: 0A8C8D10
	v_mul_f32_e32 v71, v16, v71                                // 000000004178: 0A8E8F10
	v_mfma_f32_16x16x32_bf16 v[38:41], a[120:123], a[48:51], v[38:41]// 00000000417C: D3B50026 1C9A6178
	v_mul_f32_e32 v72, v16, v72                                // 000000004184: 0A909110
	v_mul_f32_e32 v73, v16, v73                                // 000000004188: 0A929310
	ds_read_b64_tr_b16 a[180:181], v15 offset:4096             // 00000000418C: DBC61000 B400000F
	ds_read_b64_tr_b16 a[182:183], v15 offset:4352             // 000000004194: DBC61100 B600000F
	v_mfma_f32_16x16x32_bf16 v[38:41], a[124:127], a[52:55], v[38:41]// 00000000419C: D3B50026 1C9A697C
	v_mul_f32_e32 v74, v16, v74                                // 0000000041A4: 0A949510
	v_mul_f32_e32 v75, v16, v75                                // 0000000041A8: 0A969710
	ds_read_b64_tr_b16 a[184:185], v14 offset:5120             // 0000000041AC: DBC61400 B800000E
	ds_read_b64_tr_b16 a[186:187], v14 offset:5376             // 0000000041B4: DBC61500 BA00000E
	v_mfma_f32_16x16x32_bf16 v[38:41], a[128:131], a[56:59], v[38:41]// 0000000041BC: D3B50026 1C9A7180
	v_mul_f32_e32 v76, v16, v76                                // 0000000041C4: 0A989910
	v_mul_f32_e32 v77, v16, v77                                // 0000000041C8: 0A9A9B10
	ds_read_b64_tr_b16 a[188:189], v15 offset:5120             // 0000000041CC: DBC61400 BC00000F
	ds_read_b64_tr_b16 a[190:191], v15 offset:5376             // 0000000041D4: DBC61500 BE00000F
	v_mfma_f32_16x16x32_bf16 v[38:41], a[132:135], a[60:63], v[38:41]// 0000000041DC: D3B50026 1C9A7984
	buffer_load_dwordx4 v32, s[20:23], 0 offen offset:512 lds  // 0000000041E4: E05D1200 80050020
	s_add_i32 m0, m0, 0x3c0                                    // 0000000041EC: 817CFF7C 000003C0
	v_mfma_f32_16x16x32_bf16 v[38:41], a[136:139], a[64:67], v[38:41]// 0000000041F4: D3B50026 1C9A8188
	v_mul_f32_e32 v78, v16, v78                                // 0000000041FC: 0A9C9D10
	v_mul_f32_e32 v79, v16, v79                                // 000000004200: 0A9E9F10
	ds_read_b64_tr_b16 a[192:193], v14 offset:6144             // 000000004204: DBC61800 C000000E
	ds_read_b64_tr_b16 a[194:195], v14 offset:6400             // 00000000420C: DBC61900 C200000E
	ds_read_b64_tr_b16 a[196:197], v15 offset:6144             // 000000004214: DBC61800 C400000F
	ds_read_b64_tr_b16 a[198:199], v15 offset:6400             // 00000000421C: DBC61900 C600000F
	ds_read_b64_tr_b16 a[200:201], v14 offset:7168             // 000000004224: DBC61C00 C800000E
	ds_read_b64_tr_b16 a[202:203], v14 offset:7424             // 00000000422C: DBC61D00 CA00000E
	ds_read_b64_tr_b16 a[204:205], v15 offset:7168             // 000000004234: DBC61C00 CC00000F
	ds_read_b64_tr_b16 a[206:207], v15 offset:7424             // 00000000423C: DBC61D00 CE00000F
	v_mov_b32_e32 v30, v16                                     // 000000004244: 7E3C0310
	v_mov_b32_e32 v31, v16                                     // 000000004248: 7E3E0310
	v_pk_mul_f32 v[80:81], v[30:31], v[80:81]                  // 00000000424C: D3B14050 1802A11E
	v_pk_mul_f32 v[82:83], v[30:31], v[82:83]                  // 000000004254: D3B14052 1802A51E
	v_pk_mul_f32 v[84:85], v[30:31], v[84:85]                  // 00000000425C: D3B14054 1802A91E
	v_pk_mul_f32 v[86:87], v[30:31], v[86:87]                  // 000000004264: D3B14056 1802AD1E
	v_pk_mul_f32 v[88:89], v[30:31], v[88:89]                  // 00000000426C: D3B14058 1802B11E
	v_pk_mul_f32 v[90:91], v[30:31], v[90:91]                  // 000000004274: D3B1405A 1802B51E
	v_pk_mul_f32 v[92:93], v[30:31], v[92:93]                  // 00000000427C: D3B1405C 1802B91E
	v_pk_mul_f32 v[94:95], v[30:31], v[94:95]                  // 000000004284: D3B1405E 1802BD1E
	v_pk_mul_f32 v[96:97], v[30:31], v[96:97]                  // 00000000428C: D3B14060 1802C11E
	v_pk_mul_f32 v[98:99], v[30:31], v[98:99]                  // 000000004294: D3B14062 1802C51E
	v_pk_mul_f32 v[100:101], v[30:31], v[100:101]              // 00000000429C: D3B14064 1802C91E
	v_pk_mul_f32 v[102:103], v[30:31], v[102:103]              // 0000000042A4: D3B14066 1802CD1E
	v_pk_mul_f32 v[104:105], v[30:31], v[104:105]              // 0000000042AC: D3B14068 1802D11E
	v_pk_mul_f32 v[106:107], v[30:31], v[106:107]              // 0000000042B4: D3B1406A 1802D51E
	v_pk_mul_f32 v[108:109], v[30:31], v[108:109]              // 0000000042BC: D3B1406C 1802D91E
	v_pk_mul_f32 v[110:111], v[30:31], v[110:111]              // 0000000042C4: D3B1406E 1802DD1E
	v_pk_mul_f32 v[112:113], v[30:31], v[112:113]              // 0000000042CC: D3B14070 1802E11E
	v_pk_mul_f32 v[114:115], v[30:31], v[114:115]              // 0000000042D4: D3B14072 1802E51E
	v_pk_mul_f32 v[116:117], v[30:31], v[116:117]              // 0000000042DC: D3B14074 1802E91E
	v_pk_mul_f32 v[118:119], v[30:31], v[118:119]              // 0000000042E4: D3B14076 1802ED1E
	v_pk_mul_f32 v[120:121], v[30:31], v[120:121]              // 0000000042EC: D3B14078 1802F11E
	v_pk_mul_f32 v[122:123], v[30:31], v[122:123]              // 0000000042F4: D3B1407A 1802F51E
	v_pk_mul_f32 v[124:125], v[30:31], v[124:125]              // 0000000042FC: D3B1407C 1802F91E
	v_pk_mul_f32 v[126:127], v[30:31], v[126:127]              // 000000004304: D3B1407E 1802FD1E
	v_pk_mul_f32 v[128:129], v[30:31], v[128:129]              // 00000000430C: D3B14080 1803011E
	v_pk_mul_f32 v[130:131], v[30:31], v[130:131]              // 000000004314: D3B14082 1803051E
	v_pk_mul_f32 v[132:133], v[30:31], v[132:133]              // 00000000431C: D3B14084 1803091E
	v_pk_mul_f32 v[134:135], v[30:31], v[134:135]              // 000000004324: D3B14086 18030D1E
	v_pk_mul_f32 v[136:137], v[30:31], v[136:137]              // 00000000432C: D3B14088 1803111E
	v_pk_mul_f32 v[138:139], v[30:31], v[138:139]              // 000000004334: D3B1408A 1803151E
	v_pk_mul_f32 v[140:141], v[30:31], v[140:141]              // 00000000433C: D3B1408C 1803191E
	v_pk_mul_f32 v[142:143], v[30:31], v[142:143]              // 000000004344: D3B1408E 18031D1E
	v_pk_mul_f32 v[144:145], v[30:31], v[144:145]              // 00000000434C: D3B14090 1803211E
	v_pk_mul_f32 v[146:147], v[30:31], v[146:147]              // 000000004354: D3B14092 1803251E
	v_pk_mul_f32 v[148:149], v[30:31], v[148:149]              // 00000000435C: D3B14094 1803291E
	v_pk_mul_f32 v[150:151], v[30:31], v[150:151]              // 000000004364: D3B14096 18032D1E
	v_pk_mul_f32 v[152:153], v[30:31], v[152:153]              // 00000000436C: D3B14098 1803311E
	v_pk_mul_f32 v[154:155], v[30:31], v[154:155]              // 000000004374: D3B1409A 1803351E
	v_pk_mul_f32 v[156:157], v[30:31], v[156:157]              // 00000000437C: D3B1409C 1803391E
	v_pk_mul_f32 v[158:159], v[30:31], v[158:159]              // 000000004384: D3B1409E 18033D1E
	v_pk_mul_f32 v[160:161], v[30:31], v[160:161]              // 00000000438C: D3B140A0 1803411E
	v_pk_mul_f32 v[162:163], v[30:31], v[162:163]              // 000000004394: D3B140A2 1803451E
	v_pk_mul_f32 v[164:165], v[30:31], v[164:165]              // 00000000439C: D3B140A4 1803491E
	v_pk_mul_f32 v[166:167], v[30:31], v[166:167]              // 0000000043A4: D3B140A6 18034D1E
	v_pk_mul_f32 v[168:169], v[30:31], v[168:169]              // 0000000043AC: D3B140A8 1803511E
	v_pk_mul_f32 v[170:171], v[30:31], v[170:171]              // 0000000043B4: D3B140AA 1803551E
	v_pk_mul_f32 v[172:173], v[30:31], v[172:173]              // 0000000043BC: D3B140AC 1803591E
	v_pk_mul_f32 v[174:175], v[30:31], v[174:175]              // 0000000043C4: D3B140AE 18035D1E
	v_pk_mul_f32 v[176:177], v[30:31], v[176:177]              // 0000000043CC: D3B140B0 1803611E
	v_mfma_f32_16x16x32_bf16 v[38:41], a[140:143], a[68:71], v[38:41]// 0000000043D4: D3B50026 1C9A898C
	s_addk_i32 s70, 0x1                                        // 0000000043DC: B7460001
	s_cmp_lt_i32 s70, s71                                      // 0000000043E0: BF044746
	s_cbranch_scc0 label_3B3C                                  // 0000000043E4: BF840715
	s_waitcnt lgkmcnt(0)                                       // 0000000043E8: BF8CC07F
	v_mul_u32_u24_e64 v32, v23, s68                            // 0000000043EC: D1080020 00008917
	v_add_u32_e32 v32, v32, v1                                 // 0000000043F4: 68400320
	v_mfma_f32_16x16x32_bf16 v[50:53], a[144:147], v[42:45], v[50:53]// 0000000043F8: D3B50032 0CCA5590
	v_mov_b32_e32 v29, v34                                     // 000000004400: 7E3A0322
	v_max3_f32 v29, v34, v35, v29                              // 000000004404: D1D3001D 04764722
	v_mfma_f32_16x16x32_bf16 v[54:57], a[148:151], v[42:45], v[54:57]// 00000000440C: D3B50036 0CDA5594
	ds_read_b64_tr_b16 a[144:145], v14 offset:8192             // 000000004414: DBC62000 9000000E
	ds_read_b64_tr_b16 a[146:147], v14 offset:8448             // 00000000441C: DBC62100 9200000E
	v_mfma_f32_16x16x32_bf16 v[58:61], a[152:155], v[42:45], v[58:61]// 000000004424: D3B5003A 0CEA5598
	v_max3_f32 v29, v36, v37, v29                              // 00000000442C: D1D3001D 04764B24
	v_max3_f32 v29, v38, v39, v29                              // 000000004434: D1D3001D 04764F26
	v_mfma_f32_16x16x32_bf16 v[62:65], a[156:159], v[42:45], v[62:65]// 00000000443C: D3B5003E 0CFA559C
	ds_read_b64_tr_b16 a[148:149], v15 offset:8192             // 000000004444: DBC62000 9400000F
	ds_read_b64_tr_b16 a[150:151], v15 offset:8448             // 00000000444C: DBC62100 9600000F
	v_mfma_f32_16x16x32_bf16 v[66:69], a[160:163], v[42:45], v[66:69]// 000000004454: D3B50042 0D0A55A0
	v_max3_f32 v29, v40, v41, v29                              // 00000000445C: D1D3001D 04765328
	v_mov_b32_e32 v28, v29                                     // 000000004464: 7E38031D
	v_mfma_f32_16x16x32_bf16 v[70:73], a[164:167], v[42:45], v[70:73]// 000000004468: D3B50046 0D1A55A4
	ds_read_b64_tr_b16 a[152:153], v14 offset:9216             // 000000004470: DBC62400 9800000E
	ds_read_b64_tr_b16 a[154:155], v14 offset:9472             // 000000004478: DBC62500 9A00000E
	v_mfma_f32_16x16x32_bf16 v[74:77], a[168:171], v[42:45], v[74:77]// 000000004480: D3B5004A 0D2A55A8
	v_mov_b32_e32 v29, v29                                     // 000000004488: 7E3A031D
	s_nop 1                                                    // 00000000448C: BF800001
	v_mfma_f32_16x16x32_bf16 v[78:81], a[172:175], v[42:45], v[78:81]// 000000004490: D3B5004E 0D3A55AC
	ds_read_b64_tr_b16 a[156:157], v15 offset:9216             // 000000004498: DBC62400 9C00000F
	ds_read_b64_tr_b16 a[158:159], v15 offset:9472             // 0000000044A0: DBC62500 9E00000F
	v_mfma_f32_16x16x32_bf16 v[82:85], a[176:179], v[42:45], v[82:85]// 0000000044A8: D3B50052 0D4A55B0
	v_permlane16_swap_b32_e32 v28, v29                         // 0000000044B0: 7E38B31D
	v_mfma_f32_16x16x32_bf16 v[86:89], a[180:183], v[42:45], v[86:89]// 0000000044B4: D3B50056 0D5A55B4
	ds_read_b64_tr_b16 a[160:161], v14 offset:10240            // 0000000044BC: DBC62800 A000000E
	ds_read_b64_tr_b16 a[162:163], v14 offset:10496            // 0000000044C4: DBC62900 A200000E
	v_mfma_f32_16x16x32_bf16 v[90:93], a[184:187], v[42:45], v[90:93]// 0000000044CC: D3B5005A 0D6A55B8
	v_mov_b32_e32 v31, v28                                     // 0000000044D4: 7E3E031C
	v_mov_b32_e32 v30, v29                                     // 0000000044D8: 7E3C031D
	v_mfma_f32_16x16x32_bf16 v[94:97], a[188:191], v[42:45], v[94:97]// 0000000044DC: D3B5005E 0D7A55BC
	ds_read_b64_tr_b16 a[164:165], v15 offset:10240            // 0000000044E4: DBC62800 A400000F
	ds_read_b64_tr_b16 a[166:167], v15 offset:10496            // 0000000044EC: DBC62900 A600000F
	v_mfma_f32_16x16x32_bf16 v[98:101], a[192:195], v[42:45], v[98:101]// 0000000044F4: D3B50062 0D8A55C0
	s_nop 1                                                    // 0000000044FC: BF800001
	v_permlane32_swap_b32_e32 v28, v29                         // 000000004500: 7E38B51D
	v_mfma_f32_16x16x32_bf16 v[102:105], a[196:199], v[42:45], v[102:105]// 000000004504: D3B50066 0D9A55C4
	ds_read_b64_tr_b16 a[168:169], v14 offset:11264            // 00000000450C: DBC62C00 A800000E
	ds_read_b64_tr_b16 a[170:171], v14 offset:11520            // 000000004514: DBC62D00 AA00000E
	v_mfma_f32_16x16x32_bf16 v[106:109], a[200:203], v[42:45], v[106:109]// 00000000451C: D3B5006A 0DAA55C8
	v_permlane32_swap_b32_e32 v30, v31                         // 000000004524: 7E3CB51F
	v_mfma_f32_16x16x32_bf16 v[110:113], a[204:207], v[42:45], v[110:113]// 000000004528: D3B5006E 0DBA55CC
	ds_read_b64_tr_b16 a[172:173], v15 offset:11264            // 000000004530: DBC62C00 AC00000F
	ds_read_b64_tr_b16 a[174:175], v15 offset:11520            // 000000004538: DBC62D00 AE00000F
	ds_read_b64_tr_b16 a[176:177], v14 offset:12288            // 000000004540: DBC63000 B000000E
	ds_read_b64_tr_b16 a[178:179], v14 offset:12544            // 000000004548: DBC63100 B200000E
	ds_read_b64_tr_b16 a[180:181], v15 offset:12288            // 000000004550: DBC63000 B400000F
	ds_read_b64_tr_b16 a[182:183], v15 offset:12544            // 000000004558: DBC63100 B600000F
	ds_read_b64_tr_b16 a[184:185], v14 offset:13312            // 000000004560: DBC63400 B800000E
	ds_read_b64_tr_b16 a[186:187], v14 offset:13568            // 000000004568: DBC63500 BA00000E
	ds_read_b64_tr_b16 a[188:189], v15 offset:13312            // 000000004570: DBC63400 BC00000F
	ds_read_b64_tr_b16 a[190:191], v15 offset:13568            // 000000004578: DBC63500 BE00000F
	s_waitcnt lgkmcnt(0)                                       // 000000004580: BF8CC07F
	v_mfma_f32_16x16x32_bf16 v[114:117], a[144:147], v[42:45], v[114:117]// 000000004584: D3B50072 0DCA5590
	ds_read_b64_tr_b16 a[192:193], v14 offset:14336            // 00000000458C: DBC63800 C000000E
	ds_read_b64_tr_b16 a[194:195], v14 offset:14592            // 000000004594: DBC63900 C200000E
	v_mfma_f32_16x16x32_bf16 v[118:121], a[148:151], v[42:45], v[118:121]// 00000000459C: D3B50076 0DDA5594
	s_waitcnt vmcnt(10)                                        // 0000000045A4: BF8C0F7A
	s_barrier                                                  // 0000000045A8: BF8A0000
	ds_read_b128 a[72:75], v19                                 // 0000000045AC: DBFE0000 48000013
	ds_read_b128 a[76:79], v19 offset:1024                     // 0000000045B4: DBFE0400 4C000013
	v_mfma_f32_16x16x32_bf16 v[122:125], a[152:155], v[42:45], v[122:125]// 0000000045BC: D3B5007A 0DEA5598
	ds_read_b64_tr_b16 a[196:197], v15 offset:14336            // 0000000045C4: DBC63800 C400000F
	ds_read_b64_tr_b16 a[198:199], v15 offset:14592            // 0000000045CC: DBC63900 C600000F
	v_mfma_f32_16x16x32_bf16 v[126:129], a[156:159], v[42:45], v[126:129]// 0000000045D4: D3B5007E 0DFA559C
	ds_read_b128 a[80:83], v19 offset:2048                     // 0000000045DC: DBFE0800 50000013
	ds_read_b128 a[84:87], v19 offset:3072                     // 0000000045E4: DBFE0C00 54000013
	v_mfma_f32_16x16x32_bf16 v[130:133], a[160:163], v[42:45], v[130:133]// 0000000045EC: D3B50082 0E0A55A0
	ds_read_b64_tr_b16 a[200:201], v14 offset:15360            // 0000000045F4: DBC63C00 C800000E
	ds_read_b64_tr_b16 a[202:203], v14 offset:15616            // 0000000045FC: DBC63D00 CA00000E
	v_mfma_f32_16x16x32_bf16 v[134:137], a[164:167], v[42:45], v[134:137]// 000000004604: D3B50086 0E1A55A4
	ds_read_b128 a[88:91], v19 offset:4096                     // 00000000460C: DBFE1000 58000013
	ds_read_b128 a[92:95], v19 offset:5120                     // 000000004614: DBFE1400 5C000013
	v_mfma_f32_16x16x32_bf16 v[138:141], a[168:171], v[42:45], v[138:141]// 00000000461C: D3B5008A 0E2A55A8
	ds_read_b64_tr_b16 a[204:205], v15 offset:15360            // 000000004624: DBC63C00 CC00000F
	ds_read_b64_tr_b16 a[206:207], v15 offset:15616            // 00000000462C: DBC63D00 CE00000F
	v_mfma_f32_16x16x32_bf16 v[142:145], a[172:175], v[42:45], v[142:145]// 000000004634: D3B5008E 0E3A55AC
	ds_read_b128 a[96:99], v19 offset:6144                     // 00000000463C: DBFE1800 60000013
	ds_read_b128 a[100:103], v19 offset:7168                   // 000000004644: DBFE1C00 64000013
	v_mfma_f32_16x16x32_bf16 v[146:149], a[176:179], v[42:45], v[146:149]// 00000000464C: D3B50092 0E4A55B0
	v_max3_f32 v29, v28, v29, v29                              // 000000004654: D1D3001D 04763B1C
	v_max3_f32 v29, v30, v31, v29                              // 00000000465C: D1D3001D 04763F1E
	v_mfma_f32_16x16x32_bf16 v[150:153], a[180:183], v[42:45], v[150:153]// 000000004664: D3B50096 0E5A55B4
	ds_read_b128 a[104:107], v19 offset:8192                   // 00000000466C: DBFE2000 68000013
	ds_read_b128 a[108:111], v19 offset:9216                   // 000000004674: DBFE2400 6C000013
	v_mfma_f32_16x16x32_bf16 v[154:157], a[184:187], v[42:45], v[154:157]// 00000000467C: D3B5009A 0E6A55B8
	v_mov_b32_e32 v28, 0xff800000                              // 000000004684: 7E3802FF FF800000
	v_cmp_eq_u32_e64 s[36:37], v28, v2                         // 00000000468C: D0CA0024 0002051C
	v_mfma_f32_16x16x32_bf16 v[158:161], a[188:191], v[42:45], v[158:161]// 000000004694: D3B5009E 0E7A55BC
	ds_read_b128 a[112:115], v19 offset:10240                  // 00000000469C: DBFE2800 70000013
	ds_read_b128 a[116:119], v19 offset:11264                  // 0000000046A4: DBFE2C00 74000013
	v_mfma_f32_16x16x32_bf16 v[162:165], a[192:195], v[42:45], v[162:165]// 0000000046AC: D3B500A2 0E8A55C0
	v_max_f32_e32 v29, v29, v2                                 // 0000000046B4: 163A051D
	v_sub_f32_e32 v16, v2, v29                                 // 0000000046B8: 04203B02
	v_mfma_f32_16x16x32_bf16 v[166:169], a[196:199], v[42:45], v[166:169]// 0000000046BC: D3B500A6 0E9A55C4
	ds_read_b128 a[120:123], v19 offset:12288                  // 0000000046C4: DBFE3000 78000013
	ds_read_b128 a[124:127], v19 offset:13312                  // 0000000046CC: DBFE3400 7C000013
	v_mfma_f32_16x16x32_bf16 v[170:173], a[200:203], v[42:45], v[170:173]// 0000000046D4: D3B500AA 0EAA55C8
	v_cndmask_b32_e64 v16, v16, 0, s[36:37]                    // 0000000046DC: D1000010 00910110
	v_mov_b32_e32 v2, v29                                      // 0000000046E4: 7E04031D
	v_mfma_f32_16x16x32_bf16 v[174:177], a[204:207], v[42:45], v[174:177]// 0000000046E8: D3B500AE 0EBA55CC
	ds_read_b128 a[128:131], v19 offset:14336                  // 0000000046F0: DBFE3800 80000013
	ds_read_b128 a[132:135], v19 offset:15360                  // 0000000046F8: DBFE3C00 84000013
	ds_read_b128 a[136:139], v19 offset:16384                  // 000000004700: DBFE4000 88000013
	ds_read_b128 a[140:143], v19 offset:17408                  // 000000004708: DBFE4400 8C000013
	s_waitcnt lgkmcnt(0)                                       // 000000004710: BF8CC07F
	v_mfma_f32_16x16x32_bf16 v[42:45], a[72:75], a[0:3], 0     // 000000004714: D3B5002A 1A020148
	buffer_load_dword v25, v26, s[24:27], 0 offen              // 00000000471C: E0501000 8006191A
	v_mul_f32_e32 v29, s5, v29                                 // 000000004724: 0A3A3A05
	s_mov_b32 s56, 0x1d000                                     // 000000004728: BEB800FF 0001D000
	s_mul_i32 s57, s7, 0x2400                                  // 000000004730: 9239FF07 00002400
	s_add_u32 m0, s56, s57                                     // 000000004738: 807C3938
	buffer_load_dwordx4 v32, s[20:23], 0 offen lds             // 00000000473C: E05D1000 80050020
	s_add_i32 m0, m0, 0x3c0                                    // 000000004744: 817CFF7C 000003C0
	v_mfma_f32_16x16x32_bf16 v[42:45], a[76:79], a[4:7], v[42:45]// 00000000474C: D3B5002A 1CAA094C
	buffer_load_dwordx4 v32, s[20:23], 0 offen offset:64 lds   // 000000004754: E05D1040 80050020
	s_add_i32 m0, m0, 0x3c0                                    // 00000000475C: 817CFF7C 000003C0
	v_mfma_f32_16x16x32_bf16 v[42:45], a[80:83], a[8:11], v[42:45]// 000000004764: D3B5002A 1CAA1150
	v_mul_f32_e32 v16, s5, v16                                 // 00000000476C: 0A202005
	v_exp_f32_e32 v16, v16                                     // 000000004770: 7E204110
	v_mfma_f32_16x16x32_bf16 v[42:45], a[84:87], a[12:15], v[42:45]// 000000004774: D3B5002A 1CAA1954
	v_add_u32_e32 v26, s73, v26                                // 00000000477C: 68343449
	ds_read_b128 a[72:75], v19 offset:18432                    // 000000004780: DBFE4800 48000013
	ds_read_b128 a[76:79], v19 offset:19456                    // 000000004788: DBFE4C00 4C000013
	v_fma_f32 v34, v34, s5, -v29                               // 000000004790: D1CB0022 84740B22
	v_mfma_f32_16x16x32_bf16 v[42:45], a[88:91], a[16:19], v[42:45]// 000000004798: D3B5002A 1CAA2158
	ds_read_b128 a[80:83], v19 offset:20480                    // 0000000047A0: DBFE5000 50000013
	ds_read_b128 a[84:87], v19 offset:21504                    // 0000000047A8: DBFE5400 54000013
	v_fma_f32 v35, v35, s5, -v29                               // 0000000047B0: D1CB0023 84740B23
	v_mfma_f32_16x16x32_bf16 v[42:45], a[92:95], a[20:23], v[42:45]// 0000000047B8: D3B5002A 1CAA295C
	buffer_load_dwordx4 v32, s[20:23], 0 offen offset:128 lds  // 0000000047C0: E05D1080 80050020
	s_add_i32 m0, m0, 0x3c0                                    // 0000000047C8: 817CFF7C 000003C0
	v_mfma_f32_16x16x32_bf16 v[42:45], a[96:99], a[24:27], v[42:45]// 0000000047D0: D3B5002A 1CAA3160
	v_fma_f32 v36, v36, s5, -v29                               // 0000000047D8: D1CB0024 84740B24
	v_fma_f32 v37, v37, s5, -v29                               // 0000000047E0: D1CB0025 84740B25
	v_mfma_f32_16x16x32_bf16 v[42:45], a[100:103], a[28:31], v[42:45]// 0000000047E8: D3B5002A 1CAA3964
	ds_read_b128 a[88:91], v19 offset:22528                    // 0000000047F0: DBFE5800 58000013
	ds_read_b128 a[92:95], v19 offset:23552                    // 0000000047F8: DBFE5C00 5C000013
	v_fma_f32 v38, v38, s5, -v29                               // 000000004800: D1CB0026 84740B26
	v_mfma_f32_16x16x32_bf16 v[42:45], a[104:107], a[32:35], v[42:45]// 000000004808: D3B5002A 1CAA4168
	ds_read_b128 a[96:99], v19 offset:24576                    // 000000004810: DBFE6000 60000013
	ds_read_b128 a[100:103], v19 offset:25600                  // 000000004818: DBFE6400 64000013
	v_fma_f32 v39, v39, s5, -v29                               // 000000004820: D1CB0027 84740B27
	v_mfma_f32_16x16x32_bf16 v[42:45], a[108:111], a[36:39], v[42:45]// 000000004828: D3B5002A 1CAA496C
	buffer_load_dwordx4 v32, s[20:23], 0 offen offset:192 lds  // 000000004830: E05D10C0 80050020
	s_add_i32 m0, m0, 0x3c0                                    // 000000004838: 817CFF7C 000003C0
	v_mfma_f32_16x16x32_bf16 v[42:45], a[112:115], a[40:43], v[42:45]// 000000004840: D3B5002A 1CAA5170
	v_fma_f32 v40, v40, s5, -v29                               // 000000004848: D1CB0028 84740B28
	v_fma_f32 v41, v41, s5, -v29                               // 000000004850: D1CB0029 84740B29
	v_mfma_f32_16x16x32_bf16 v[42:45], a[116:119], a[44:47], v[42:45]// 000000004858: D3B5002A 1CAA5974
	v_exp_f32_e32 v34, v34                                     // 000000004860: 7E444122
	v_mfma_f32_16x16x32_bf16 v[42:45], a[120:123], a[48:51], v[42:45]// 000000004864: D3B5002A 1CAA6178
	ds_read_b128 a[104:107], v19 offset:26624                  // 00000000486C: DBFE6800 68000013
	ds_read_b128 a[108:111], v19 offset:27648                  // 000000004874: DBFE6C00 6C000013
	v_exp_f32_e32 v35, v35                                     // 00000000487C: 7E464123
	v_mfma_f32_16x16x32_bf16 v[42:45], a[124:127], a[52:55], v[42:45]// 000000004880: D3B5002A 1CAA697C
	buffer_load_dwordx4 v32, s[20:23], 0 offen offset:256 lds  // 000000004888: E05D1100 80050020
	s_add_i32 m0, m0, 0x3c0                                    // 000000004890: 817CFF7C 000003C0
	v_mfma_f32_16x16x32_bf16 v[42:45], a[128:131], a[56:59], v[42:45]// 000000004898: D3B5002A 1CAA7180
	v_exp_f32_e32 v36, v36                                     // 0000000048A0: 7E484124
	v_mfma_f32_16x16x32_bf16 v[42:45], a[132:135], a[60:63], v[42:45]// 0000000048A4: D3B5002A 1CAA7984
	ds_read_b128 a[112:115], v19 offset:28672                  // 0000000048AC: DBFE7000 70000013
	ds_read_b128 a[116:119], v19 offset:29696                  // 0000000048B4: DBFE7400 74000013
	v_exp_f32_e32 v37, v37                                     // 0000000048BC: 7E4A4125
	v_mfma_f32_16x16x32_bf16 v[42:45], a[136:139], a[64:67], v[42:45]// 0000000048C0: D3B5002A 1CAA8188
	ds_read_b128 a[120:123], v19 offset:30720                  // 0000000048C8: DBFE7800 78000013
	ds_read_b128 a[124:127], v19 offset:31744                  // 0000000048D0: DBFE7C00 7C000013
	v_exp_f32_e32 v38, v38                                     // 0000000048D8: 7E4C4126
	v_mfma_f32_16x16x32_bf16 v[42:45], a[140:143], a[68:71], v[42:45]// 0000000048DC: D3B5002A 1CAA898C
	ds_read_b128 a[128:131], v19 offset:32768                  // 0000000048E4: DBFE8000 80000013
	ds_read_b128 a[132:135], v19 offset:33792                  // 0000000048EC: DBFE8400 84000013
	v_exp_f32_e32 v39, v39                                     // 0000000048F4: 7E4E4127
	ds_read_b128 a[136:139], v19 offset:34816                  // 0000000048F8: DBFE8800 88000013
	ds_read_b128 a[140:143], v19 offset:35840                  // 000000004900: DBFE8C00 8C000013
	v_exp_f32_e32 v40, v40                                     // 000000004908: 7E504128
	v_exp_f32_e32 v41, v41                                     // 00000000490C: 7E524129
	v_mul_f32_e32 v4, v16, v4                                  // 000000004910: 0A080910
	v_mov_b32_e32 v28, v34                                     // 000000004914: 7E380322
	v_add_f32_e32 v28, v35, v28                                // 000000004918: 02383923
	v_add_f32_e32 v28, v36, v28                                // 00000000491C: 02383924
	v_add_f32_e32 v28, v37, v28                                // 000000004920: 02383925
	v_add_f32_e32 v28, v38, v28                                // 000000004924: 02383926
	;; [unrolled: 1-line block ×3, first 2 shown]
	v_add_f32_e32 v28, v40, v28                                // 00000000492C: 02383928
	v_add_f32_e32 v28, v41, v28                                // 000000004930: 02383929
	v_add_f32_e32 v4, v28, v4                                  // 000000004934: 0208091C
	v_cvt_pk_bf16_f32 v34, v34, v35                            // 000000004938: D2680022 00024722
	v_cvt_pk_bf16_f32 v35, v36, v37                            // 000000004940: D2680023 00024B24
	v_cvt_pk_bf16_f32 v36, v38, v39                            // 000000004948: D2680024 00024F26
	v_cvt_pk_bf16_f32 v37, v40, v41                            // 000000004950: D2680025 00025328
	s_nop 0                                                    // 000000004958: BF800000
	v_permlane32_swap_b32_e32 v34, v36                         // 00000000495C: 7E44B524
	v_permlane32_swap_b32_e32 v35, v37                         // 000000004960: 7E46B525
	s_nop 0                                                    // 000000004964: BF800000
	v_permlane16_swap_b32_e32 v34, v36                         // 000000004968: 7E44B324
	v_permlane16_swap_b32_e32 v35, v37                         // 00000000496C: 7E46B325
	s_waitcnt lgkmcnt(0)                                       // 000000004970: BF8CC07F
	v_mfma_f32_16x16x32_bf16 v[46:49], a[72:75], a[0:3], 0     // 000000004974: D3B5002E 1A020148
	v_mul_f32_e32 v50, v16, v50                                // 00000000497C: 0A646510
	v_mul_f32_e32 v51, v16, v51                                // 000000004980: 0A666710
	ds_read_b64_tr_b16 a[144:145], v8                          // 000000004984: DBC60000 90000008
	ds_read_b64_tr_b16 a[146:147], v8 offset:256               // 00000000498C: DBC60100 92000008
	v_mfma_f32_16x16x32_bf16 v[46:49], a[76:79], a[4:7], v[46:49]// 000000004994: D3B5002E 1CBA094C
	buffer_load_dwordx4 v32, s[20:23], 0 offen offset:320 lds  // 00000000499C: E05D1140 80050020
	s_add_i32 m0, m0, 0x3c0                                    // 0000000049A4: 817CFF7C 000003C0
	v_mul_f32_e32 v52, v16, v52                                // 0000000049AC: 0A686910
	v_mul_f32_e32 v53, v16, v53                                // 0000000049B0: 0A6A6B10
	v_mfma_f32_16x16x32_bf16 v[46:49], a[80:83], a[8:11], v[46:49]// 0000000049B4: D3B5002E 1CBA1150
	v_mul_f32_e32 v54, v16, v54                                // 0000000049BC: 0A6C6D10
	v_mul_f32_e32 v55, v16, v55                                // 0000000049C0: 0A6E6F10
	ds_read_b64_tr_b16 a[148:149], v9                          // 0000000049C4: DBC60000 94000009
	ds_read_b64_tr_b16 a[150:151], v9 offset:256               // 0000000049CC: DBC60100 96000009
	v_mfma_f32_16x16x32_bf16 v[46:49], a[84:87], a[12:15], v[46:49]// 0000000049D4: D3B5002E 1CBA1954
	v_mul_f32_e32 v56, v16, v56                                // 0000000049DC: 0A707110
	v_mul_f32_e32 v57, v16, v57                                // 0000000049E0: 0A727310
	ds_read_b64_tr_b16 a[152:153], v8 offset:1024              // 0000000049E4: DBC60400 98000008
	ds_read_b64_tr_b16 a[154:155], v8 offset:1280              // 0000000049EC: DBC60500 9A000008
	v_mfma_f32_16x16x32_bf16 v[46:49], a[88:91], a[16:19], v[46:49]// 0000000049F4: D3B5002E 1CBA2158
	v_mul_f32_e32 v58, v16, v58                                // 0000000049FC: 0A747510
	v_mul_f32_e32 v59, v16, v59                                // 000000004A00: 0A767710
	ds_read_b64_tr_b16 a[156:157], v9 offset:1024              // 000000004A04: DBC60400 9C000009
	ds_read_b64_tr_b16 a[158:159], v9 offset:1280              // 000000004A0C: DBC60500 9E000009
	v_mfma_f32_16x16x32_bf16 v[46:49], a[92:95], a[20:23], v[46:49]// 000000004A14: D3B5002E 1CBA295C
	v_mul_f32_e32 v60, v16, v60                                // 000000004A1C: 0A787910
	v_mul_f32_e32 v61, v16, v61                                // 000000004A20: 0A7A7B10
	ds_read_b64_tr_b16 a[160:161], v8 offset:2048              // 000000004A24: DBC60800 A0000008
	ds_read_b64_tr_b16 a[162:163], v8 offset:2304              // 000000004A2C: DBC60900 A2000008
	v_mfma_f32_16x16x32_bf16 v[46:49], a[96:99], a[24:27], v[46:49]// 000000004A34: D3B5002E 1CBA3160
	v_mul_f32_e32 v62, v16, v62                                // 000000004A3C: 0A7C7D10
	v_mul_f32_e32 v63, v16, v63                                // 000000004A40: 0A7E7F10
	ds_read_b64_tr_b16 a[164:165], v9 offset:2048              // 000000004A44: DBC60800 A4000009
	ds_read_b64_tr_b16 a[166:167], v9 offset:2304              // 000000004A4C: DBC60900 A6000009
	v_mfma_f32_16x16x32_bf16 v[46:49], a[100:103], a[28:31], v[46:49]// 000000004A54: D3B5002E 1CBA3964
	buffer_load_dwordx4 v32, s[20:23], 0 offen offset:384 lds  // 000000004A5C: E05D1180 80050020
	s_add_i32 m0, m0, 0x3c0                                    // 000000004A64: 817CFF7C 000003C0
	v_mfma_f32_16x16x32_bf16 v[46:49], a[104:107], a[32:35], v[46:49]// 000000004A6C: D3B5002E 1CBA4168
	v_mul_f32_e32 v64, v16, v64                                // 000000004A74: 0A808110
	v_mul_f32_e32 v65, v16, v65                                // 000000004A78: 0A828310
	ds_read_b64_tr_b16 a[168:169], v8 offset:3072              // 000000004A7C: DBC60C00 A8000008
	ds_read_b64_tr_b16 a[170:171], v8 offset:3328              // 000000004A84: DBC60D00 AA000008
	v_mfma_f32_16x16x32_bf16 v[46:49], a[108:111], a[36:39], v[46:49]// 000000004A8C: D3B5002E 1CBA496C
	v_mul_f32_e32 v66, v16, v66                                // 000000004A94: 0A848510
	v_mul_f32_e32 v67, v16, v67                                // 000000004A98: 0A868710
	ds_read_b64_tr_b16 a[172:173], v9 offset:3072              // 000000004A9C: DBC60C00 AC000009
	ds_read_b64_tr_b16 a[174:175], v9 offset:3328              // 000000004AA4: DBC60D00 AE000009
	v_mfma_f32_16x16x32_bf16 v[46:49], a[112:115], a[40:43], v[46:49]// 000000004AAC: D3B5002E 1CBA5170
	v_mul_f32_e32 v68, v16, v68                                // 000000004AB4: 0A888910
	v_mul_f32_e32 v69, v16, v69                                // 000000004AB8: 0A8A8B10
	ds_read_b64_tr_b16 a[176:177], v8 offset:4096              // 000000004ABC: DBC61000 B0000008
	ds_read_b64_tr_b16 a[178:179], v8 offset:4352              // 000000004AC4: DBC61100 B2000008
	v_mfma_f32_16x16x32_bf16 v[46:49], a[116:119], a[44:47], v[46:49]// 000000004ACC: D3B5002E 1CBA5974
	buffer_load_dwordx4 v32, s[20:23], 0 offen offset:448 lds  // 000000004AD4: E05D11C0 80050020
	s_add_i32 m0, m0, 0x3c0                                    // 000000004ADC: 817CFF7C 000003C0
	v_mul_f32_e32 v70, v16, v70                                // 000000004AE4: 0A8C8D10
	v_mul_f32_e32 v71, v16, v71                                // 000000004AE8: 0A8E8F10
	v_mfma_f32_16x16x32_bf16 v[46:49], a[120:123], a[48:51], v[46:49]// 000000004AEC: D3B5002E 1CBA6178
	v_mul_f32_e32 v72, v16, v72                                // 000000004AF4: 0A909110
	v_mul_f32_e32 v73, v16, v73                                // 000000004AF8: 0A929310
	ds_read_b64_tr_b16 a[180:181], v9 offset:4096              // 000000004AFC: DBC61000 B4000009
	ds_read_b64_tr_b16 a[182:183], v9 offset:4352              // 000000004B04: DBC61100 B6000009
	v_mfma_f32_16x16x32_bf16 v[46:49], a[124:127], a[52:55], v[46:49]// 000000004B0C: D3B5002E 1CBA697C
	v_mul_f32_e32 v74, v16, v74                                // 000000004B14: 0A949510
	v_mul_f32_e32 v75, v16, v75                                // 000000004B18: 0A969710
	ds_read_b64_tr_b16 a[184:185], v8 offset:5120              // 000000004B1C: DBC61400 B8000008
	ds_read_b64_tr_b16 a[186:187], v8 offset:5376              // 000000004B24: DBC61500 BA000008
	v_mfma_f32_16x16x32_bf16 v[46:49], a[128:131], a[56:59], v[46:49]// 000000004B2C: D3B5002E 1CBA7180
	v_mul_f32_e32 v76, v16, v76                                // 000000004B34: 0A989910
	v_mul_f32_e32 v77, v16, v77                                // 000000004B38: 0A9A9B10
	ds_read_b64_tr_b16 a[188:189], v9 offset:5120              // 000000004B3C: DBC61400 BC000009
	ds_read_b64_tr_b16 a[190:191], v9 offset:5376              // 000000004B44: DBC61500 BE000009
	v_mfma_f32_16x16x32_bf16 v[46:49], a[132:135], a[60:63], v[46:49]// 000000004B4C: D3B5002E 1CBA7984
	buffer_load_dwordx4 v32, s[20:23], 0 offen offset:512 lds  // 000000004B54: E05D1200 80050020
	s_add_i32 m0, m0, 0x3c0                                    // 000000004B5C: 817CFF7C 000003C0
	v_mfma_f32_16x16x32_bf16 v[46:49], a[136:139], a[64:67], v[46:49]// 000000004B64: D3B5002E 1CBA8188
	v_mul_f32_e32 v78, v16, v78                                // 000000004B6C: 0A9C9D10
	v_mul_f32_e32 v79, v16, v79                                // 000000004B70: 0A9E9F10
	ds_read_b64_tr_b16 a[192:193], v8 offset:6144              // 000000004B74: DBC61800 C0000008
	ds_read_b64_tr_b16 a[194:195], v8 offset:6400              // 000000004B7C: DBC61900 C2000008
	ds_read_b64_tr_b16 a[196:197], v9 offset:6144              // 000000004B84: DBC61800 C4000009
	ds_read_b64_tr_b16 a[198:199], v9 offset:6400              // 000000004B8C: DBC61900 C6000009
	ds_read_b64_tr_b16 a[200:201], v8 offset:7168              // 000000004B94: DBC61C00 C8000008
	ds_read_b64_tr_b16 a[202:203], v8 offset:7424              // 000000004B9C: DBC61D00 CA000008
	ds_read_b64_tr_b16 a[204:205], v9 offset:7168              // 000000004BA4: DBC61C00 CC000009
	ds_read_b64_tr_b16 a[206:207], v9 offset:7424              // 000000004BAC: DBC61D00 CE000009
	v_mov_b32_e32 v30, v16                                     // 000000004BB4: 7E3C0310
	v_mov_b32_e32 v31, v16                                     // 000000004BB8: 7E3E0310
	v_pk_mul_f32 v[80:81], v[30:31], v[80:81]                  // 000000004BBC: D3B14050 1802A11E
	v_pk_mul_f32 v[82:83], v[30:31], v[82:83]                  // 000000004BC4: D3B14052 1802A51E
	v_pk_mul_f32 v[84:85], v[30:31], v[84:85]                  // 000000004BCC: D3B14054 1802A91E
	v_pk_mul_f32 v[86:87], v[30:31], v[86:87]                  // 000000004BD4: D3B14056 1802AD1E
	v_pk_mul_f32 v[88:89], v[30:31], v[88:89]                  // 000000004BDC: D3B14058 1802B11E
	v_pk_mul_f32 v[90:91], v[30:31], v[90:91]                  // 000000004BE4: D3B1405A 1802B51E
	v_pk_mul_f32 v[92:93], v[30:31], v[92:93]                  // 000000004BEC: D3B1405C 1802B91E
	v_pk_mul_f32 v[94:95], v[30:31], v[94:95]                  // 000000004BF4: D3B1405E 1802BD1E
	v_pk_mul_f32 v[96:97], v[30:31], v[96:97]                  // 000000004BFC: D3B14060 1802C11E
	v_pk_mul_f32 v[98:99], v[30:31], v[98:99]                  // 000000004C04: D3B14062 1802C51E
	v_pk_mul_f32 v[100:101], v[30:31], v[100:101]              // 000000004C0C: D3B14064 1802C91E
	v_pk_mul_f32 v[102:103], v[30:31], v[102:103]              // 000000004C14: D3B14066 1802CD1E
	v_pk_mul_f32 v[104:105], v[30:31], v[104:105]              // 000000004C1C: D3B14068 1802D11E
	v_pk_mul_f32 v[106:107], v[30:31], v[106:107]              // 000000004C24: D3B1406A 1802D51E
	v_pk_mul_f32 v[108:109], v[30:31], v[108:109]              // 000000004C2C: D3B1406C 1802D91E
	v_pk_mul_f32 v[110:111], v[30:31], v[110:111]              // 000000004C34: D3B1406E 1802DD1E
	v_pk_mul_f32 v[112:113], v[30:31], v[112:113]              // 000000004C3C: D3B14070 1802E11E
	v_pk_mul_f32 v[114:115], v[30:31], v[114:115]              // 000000004C44: D3B14072 1802E51E
	v_pk_mul_f32 v[116:117], v[30:31], v[116:117]              // 000000004C4C: D3B14074 1802E91E
	v_pk_mul_f32 v[118:119], v[30:31], v[118:119]              // 000000004C54: D3B14076 1802ED1E
	v_pk_mul_f32 v[120:121], v[30:31], v[120:121]              // 000000004C5C: D3B14078 1802F11E
	v_pk_mul_f32 v[122:123], v[30:31], v[122:123]              // 000000004C64: D3B1407A 1802F51E
	v_pk_mul_f32 v[124:125], v[30:31], v[124:125]              // 000000004C6C: D3B1407C 1802F91E
	v_pk_mul_f32 v[126:127], v[30:31], v[126:127]              // 000000004C74: D3B1407E 1802FD1E
	v_pk_mul_f32 v[128:129], v[30:31], v[128:129]              // 000000004C7C: D3B14080 1803011E
	v_pk_mul_f32 v[130:131], v[30:31], v[130:131]              // 000000004C84: D3B14082 1803051E
	v_pk_mul_f32 v[132:133], v[30:31], v[132:133]              // 000000004C8C: D3B14084 1803091E
	v_pk_mul_f32 v[134:135], v[30:31], v[134:135]              // 000000004C94: D3B14086 18030D1E
	v_pk_mul_f32 v[136:137], v[30:31], v[136:137]              // 000000004C9C: D3B14088 1803111E
	v_pk_mul_f32 v[138:139], v[30:31], v[138:139]              // 000000004CA4: D3B1408A 1803151E
	v_pk_mul_f32 v[140:141], v[30:31], v[140:141]              // 000000004CAC: D3B1408C 1803191E
	v_pk_mul_f32 v[142:143], v[30:31], v[142:143]              // 000000004CB4: D3B1408E 18031D1E
	v_pk_mul_f32 v[144:145], v[30:31], v[144:145]              // 000000004CBC: D3B14090 1803211E
	v_pk_mul_f32 v[146:147], v[30:31], v[146:147]              // 000000004CC4: D3B14092 1803251E
	v_pk_mul_f32 v[148:149], v[30:31], v[148:149]              // 000000004CCC: D3B14094 1803291E
	v_pk_mul_f32 v[150:151], v[30:31], v[150:151]              // 000000004CD4: D3B14096 18032D1E
	v_pk_mul_f32 v[152:153], v[30:31], v[152:153]              // 000000004CDC: D3B14098 1803311E
	v_pk_mul_f32 v[154:155], v[30:31], v[154:155]              // 000000004CE4: D3B1409A 1803351E
	v_pk_mul_f32 v[156:157], v[30:31], v[156:157]              // 000000004CEC: D3B1409C 1803391E
	v_pk_mul_f32 v[158:159], v[30:31], v[158:159]              // 000000004CF4: D3B1409E 18033D1E
	v_pk_mul_f32 v[160:161], v[30:31], v[160:161]              // 000000004CFC: D3B140A0 1803411E
	v_pk_mul_f32 v[162:163], v[30:31], v[162:163]              // 000000004D04: D3B140A2 1803451E
	v_pk_mul_f32 v[164:165], v[30:31], v[164:165]              // 000000004D0C: D3B140A4 1803491E
	v_pk_mul_f32 v[166:167], v[30:31], v[166:167]              // 000000004D14: D3B140A6 18034D1E
	v_pk_mul_f32 v[168:169], v[30:31], v[168:169]              // 000000004D1C: D3B140A8 1803511E
	v_pk_mul_f32 v[170:171], v[30:31], v[170:171]              // 000000004D24: D3B140AA 1803551E
	v_pk_mul_f32 v[172:173], v[30:31], v[172:173]              // 000000004D2C: D3B140AC 1803591E
	v_pk_mul_f32 v[174:175], v[30:31], v[174:175]              // 000000004D34: D3B140AE 18035D1E
	v_pk_mul_f32 v[176:177], v[30:31], v[176:177]              // 000000004D3C: D3B140B0 1803611E
	v_mfma_f32_16x16x32_bf16 v[46:49], a[140:143], a[68:71], v[46:49]// 000000004D44: D3B5002E 1CBA898C
	s_addk_i32 s70, 0x1                                        // 000000004D4C: B7460001
	s_cmp_lt_i32 s70, s71                                      // 000000004D50: BF044746
	s_cbranch_scc0 label_3B3C                                  // 000000004D54: BF8404B9
	s_waitcnt lgkmcnt(0)                                       // 000000004D58: BF8CC07F
	v_mul_u32_u24_e64 v32, v24, s68                            // 000000004D5C: D1080020 00008918
	v_add_u32_e32 v32, v32, v1                                 // 000000004D64: 68400320
	v_mfma_f32_16x16x32_bf16 v[50:53], a[144:147], v[34:37], v[50:53]// 000000004D68: D3B50032 0CCA4590
	v_mov_b32_e32 v29, v42                                     // 000000004D70: 7E3A032A
	v_max3_f32 v29, v42, v43, v29                              // 000000004D74: D1D3001D 0476572A
	v_mfma_f32_16x16x32_bf16 v[54:57], a[148:151], v[34:37], v[54:57]// 000000004D7C: D3B50036 0CDA4594
	ds_read_b64_tr_b16 a[144:145], v8 offset:8192              // 000000004D84: DBC62000 90000008
	ds_read_b64_tr_b16 a[146:147], v8 offset:8448              // 000000004D8C: DBC62100 92000008
	v_mfma_f32_16x16x32_bf16 v[58:61], a[152:155], v[34:37], v[58:61]// 000000004D94: D3B5003A 0CEA4598
	v_max3_f32 v29, v44, v45, v29                              // 000000004D9C: D1D3001D 04765B2C
	v_max3_f32 v29, v46, v47, v29                              // 000000004DA4: D1D3001D 04765F2E
	v_mfma_f32_16x16x32_bf16 v[62:65], a[156:159], v[34:37], v[62:65]// 000000004DAC: D3B5003E 0CFA459C
	ds_read_b64_tr_b16 a[148:149], v9 offset:8192              // 000000004DB4: DBC62000 94000009
	ds_read_b64_tr_b16 a[150:151], v9 offset:8448              // 000000004DBC: DBC62100 96000009
	v_mfma_f32_16x16x32_bf16 v[66:69], a[160:163], v[34:37], v[66:69]// 000000004DC4: D3B50042 0D0A45A0
	v_max3_f32 v29, v48, v49, v29                              // 000000004DCC: D1D3001D 04766330
	v_mov_b32_e32 v28, v29                                     // 000000004DD4: 7E38031D
	v_mfma_f32_16x16x32_bf16 v[70:73], a[164:167], v[34:37], v[70:73]// 000000004DD8: D3B50046 0D1A45A4
	ds_read_b64_tr_b16 a[152:153], v8 offset:9216              // 000000004DE0: DBC62400 98000008
	ds_read_b64_tr_b16 a[154:155], v8 offset:9472              // 000000004DE8: DBC62500 9A000008
	v_mfma_f32_16x16x32_bf16 v[74:77], a[168:171], v[34:37], v[74:77]// 000000004DF0: D3B5004A 0D2A45A8
	v_mov_b32_e32 v29, v29                                     // 000000004DF8: 7E3A031D
	s_nop 1                                                    // 000000004DFC: BF800001
	v_mfma_f32_16x16x32_bf16 v[78:81], a[172:175], v[34:37], v[78:81]// 000000004E00: D3B5004E 0D3A45AC
	ds_read_b64_tr_b16 a[156:157], v9 offset:9216              // 000000004E08: DBC62400 9C000009
	ds_read_b64_tr_b16 a[158:159], v9 offset:9472              // 000000004E10: DBC62500 9E000009
	v_mfma_f32_16x16x32_bf16 v[82:85], a[176:179], v[34:37], v[82:85]// 000000004E18: D3B50052 0D4A45B0
	v_permlane16_swap_b32_e32 v28, v29                         // 000000004E20: 7E38B31D
	v_mfma_f32_16x16x32_bf16 v[86:89], a[180:183], v[34:37], v[86:89]// 000000004E24: D3B50056 0D5A45B4
	ds_read_b64_tr_b16 a[160:161], v8 offset:10240             // 000000004E2C: DBC62800 A0000008
	ds_read_b64_tr_b16 a[162:163], v8 offset:10496             // 000000004E34: DBC62900 A2000008
	v_mfma_f32_16x16x32_bf16 v[90:93], a[184:187], v[34:37], v[90:93]// 000000004E3C: D3B5005A 0D6A45B8
	v_mov_b32_e32 v31, v28                                     // 000000004E44: 7E3E031C
	v_mov_b32_e32 v30, v29                                     // 000000004E48: 7E3C031D
	v_mfma_f32_16x16x32_bf16 v[94:97], a[188:191], v[34:37], v[94:97]// 000000004E4C: D3B5005E 0D7A45BC
	ds_read_b64_tr_b16 a[164:165], v9 offset:10240             // 000000004E54: DBC62800 A4000009
	ds_read_b64_tr_b16 a[166:167], v9 offset:10496             // 000000004E5C: DBC62900 A6000009
	v_mfma_f32_16x16x32_bf16 v[98:101], a[192:195], v[34:37], v[98:101]// 000000004E64: D3B50062 0D8A45C0
	s_nop 1                                                    // 000000004E6C: BF800001
	v_permlane32_swap_b32_e32 v28, v29                         // 000000004E70: 7E38B51D
	v_mfma_f32_16x16x32_bf16 v[102:105], a[196:199], v[34:37], v[102:105]// 000000004E74: D3B50066 0D9A45C4
	ds_read_b64_tr_b16 a[168:169], v8 offset:11264             // 000000004E7C: DBC62C00 A8000008
	ds_read_b64_tr_b16 a[170:171], v8 offset:11520             // 000000004E84: DBC62D00 AA000008
	v_mfma_f32_16x16x32_bf16 v[106:109], a[200:203], v[34:37], v[106:109]// 000000004E8C: D3B5006A 0DAA45C8
	v_permlane32_swap_b32_e32 v30, v31                         // 000000004E94: 7E3CB51F
	v_mfma_f32_16x16x32_bf16 v[110:113], a[204:207], v[34:37], v[110:113]// 000000004E98: D3B5006E 0DBA45CC
	ds_read_b64_tr_b16 a[172:173], v9 offset:11264             // 000000004EA0: DBC62C00 AC000009
	ds_read_b64_tr_b16 a[174:175], v9 offset:11520             // 000000004EA8: DBC62D00 AE000009
	ds_read_b64_tr_b16 a[176:177], v8 offset:12288             // 000000004EB0: DBC63000 B0000008
	ds_read_b64_tr_b16 a[178:179], v8 offset:12544             // 000000004EB8: DBC63100 B2000008
	ds_read_b64_tr_b16 a[180:181], v9 offset:12288             // 000000004EC0: DBC63000 B4000009
	ds_read_b64_tr_b16 a[182:183], v9 offset:12544             // 000000004EC8: DBC63100 B6000009
	ds_read_b64_tr_b16 a[184:185], v8 offset:13312             // 000000004ED0: DBC63400 B8000008
	ds_read_b64_tr_b16 a[186:187], v8 offset:13568             // 000000004ED8: DBC63500 BA000008
	ds_read_b64_tr_b16 a[188:189], v9 offset:13312             // 000000004EE0: DBC63400 BC000009
	ds_read_b64_tr_b16 a[190:191], v9 offset:13568             // 000000004EE8: DBC63500 BE000009
	s_waitcnt lgkmcnt(0)                                       // 000000004EF0: BF8CC07F
	v_mfma_f32_16x16x32_bf16 v[114:117], a[144:147], v[34:37], v[114:117]// 000000004EF4: D3B50072 0DCA4590
	ds_read_b64_tr_b16 a[192:193], v8 offset:14336             // 000000004EFC: DBC63800 C0000008
	ds_read_b64_tr_b16 a[194:195], v8 offset:14592             // 000000004F04: DBC63900 C2000008
	v_mfma_f32_16x16x32_bf16 v[118:121], a[148:151], v[34:37], v[118:121]// 000000004F0C: D3B50076 0DDA4594
	s_waitcnt vmcnt(10)                                        // 000000004F14: BF8C0F7A
	s_barrier                                                  // 000000004F18: BF8A0000
	ds_read_b128 a[72:75], v20                                 // 000000004F1C: DBFE0000 48000014
	ds_read_b128 a[76:79], v20 offset:1024                     // 000000004F24: DBFE0400 4C000014
	v_mfma_f32_16x16x32_bf16 v[122:125], a[152:155], v[34:37], v[122:125]// 000000004F2C: D3B5007A 0DEA4598
	ds_read_b64_tr_b16 a[196:197], v9 offset:14336             // 000000004F34: DBC63800 C4000009
	ds_read_b64_tr_b16 a[198:199], v9 offset:14592             // 000000004F3C: DBC63900 C6000009
	v_mfma_f32_16x16x32_bf16 v[126:129], a[156:159], v[34:37], v[126:129]// 000000004F44: D3B5007E 0DFA459C
	ds_read_b128 a[80:83], v20 offset:2048                     // 000000004F4C: DBFE0800 50000014
	ds_read_b128 a[84:87], v20 offset:3072                     // 000000004F54: DBFE0C00 54000014
	v_mfma_f32_16x16x32_bf16 v[130:133], a[160:163], v[34:37], v[130:133]// 000000004F5C: D3B50082 0E0A45A0
	ds_read_b64_tr_b16 a[200:201], v8 offset:15360             // 000000004F64: DBC63C00 C8000008
	ds_read_b64_tr_b16 a[202:203], v8 offset:15616             // 000000004F6C: DBC63D00 CA000008
	v_mfma_f32_16x16x32_bf16 v[134:137], a[164:167], v[34:37], v[134:137]// 000000004F74: D3B50086 0E1A45A4
	ds_read_b128 a[88:91], v20 offset:4096                     // 000000004F7C: DBFE1000 58000014
	ds_read_b128 a[92:95], v20 offset:5120                     // 000000004F84: DBFE1400 5C000014
	v_mfma_f32_16x16x32_bf16 v[138:141], a[168:171], v[34:37], v[138:141]// 000000004F8C: D3B5008A 0E2A45A8
	ds_read_b64_tr_b16 a[204:205], v9 offset:15360             // 000000004F94: DBC63C00 CC000009
	ds_read_b64_tr_b16 a[206:207], v9 offset:15616             // 000000004F9C: DBC63D00 CE000009
	v_mfma_f32_16x16x32_bf16 v[142:145], a[172:175], v[34:37], v[142:145]// 000000004FA4: D3B5008E 0E3A45AC
	ds_read_b128 a[96:99], v20 offset:6144                     // 000000004FAC: DBFE1800 60000014
	ds_read_b128 a[100:103], v20 offset:7168                   // 000000004FB4: DBFE1C00 64000014
	v_mfma_f32_16x16x32_bf16 v[146:149], a[176:179], v[34:37], v[146:149]// 000000004FBC: D3B50092 0E4A45B0
	v_max3_f32 v29, v28, v29, v29                              // 000000004FC4: D1D3001D 04763B1C
	v_max3_f32 v29, v30, v31, v29                              // 000000004FCC: D1D3001D 04763F1E
	v_mfma_f32_16x16x32_bf16 v[150:153], a[180:183], v[34:37], v[150:153]// 000000004FD4: D3B50096 0E5A45B4
	ds_read_b128 a[104:107], v20 offset:8192                   // 000000004FDC: DBFE2000 68000014
	ds_read_b128 a[108:111], v20 offset:9216                   // 000000004FE4: DBFE2400 6C000014
	v_mfma_f32_16x16x32_bf16 v[154:157], a[184:187], v[34:37], v[154:157]// 000000004FEC: D3B5009A 0E6A45B8
	v_mov_b32_e32 v28, 0xff800000                              // 000000004FF4: 7E3802FF FF800000
	v_cmp_eq_u32_e64 s[36:37], v28, v2                         // 000000004FFC: D0CA0024 0002051C
	v_mfma_f32_16x16x32_bf16 v[158:161], a[188:191], v[34:37], v[158:161]// 000000005004: D3B5009E 0E7A45BC
	ds_read_b128 a[112:115], v20 offset:10240                  // 00000000500C: DBFE2800 70000014
	ds_read_b128 a[116:119], v20 offset:11264                  // 000000005014: DBFE2C00 74000014
	v_mfma_f32_16x16x32_bf16 v[162:165], a[192:195], v[34:37], v[162:165]// 00000000501C: D3B500A2 0E8A45C0
	v_max_f32_e32 v29, v29, v2                                 // 000000005024: 163A051D
	v_sub_f32_e32 v16, v2, v29                                 // 000000005028: 04203B02
	v_mfma_f32_16x16x32_bf16 v[166:169], a[196:199], v[34:37], v[166:169]// 00000000502C: D3B500A6 0E9A45C4
	ds_read_b128 a[120:123], v20 offset:12288                  // 000000005034: DBFE3000 78000014
	ds_read_b128 a[124:127], v20 offset:13312                  // 00000000503C: DBFE3400 7C000014
	v_mfma_f32_16x16x32_bf16 v[170:173], a[200:203], v[34:37], v[170:173]// 000000005044: D3B500AA 0EAA45C8
	v_cndmask_b32_e64 v16, v16, 0, s[36:37]                    // 00000000504C: D1000010 00910110
	v_mov_b32_e32 v2, v29                                      // 000000005054: 7E04031D
	v_mfma_f32_16x16x32_bf16 v[174:177], a[204:207], v[34:37], v[174:177]// 000000005058: D3B500AE 0EBA45CC
	ds_read_b128 a[128:131], v20 offset:14336                  // 000000005060: DBFE3800 80000014
	ds_read_b128 a[132:135], v20 offset:15360                  // 000000005068: DBFE3C00 84000014
	ds_read_b128 a[136:139], v20 offset:16384                  // 000000005070: DBFE4000 88000014
	ds_read_b128 a[140:143], v20 offset:17408                  // 000000005078: DBFE4400 8C000014
	s_waitcnt lgkmcnt(0)                                       // 000000005080: BF8CC07F
	v_mfma_f32_16x16x32_bf16 v[34:37], a[72:75], a[0:3], 0     // 000000005084: D3B50022 1A020148
	buffer_load_dword v22, v26, s[24:27], 0 offen              // 00000000508C: E0501000 8006161A
	v_mul_f32_e32 v29, s5, v29                                 // 000000005094: 0A3A3A05
	s_mov_b32 s56, 0x2000                                      // 000000005098: BEB800FF 00002000
	s_mul_i32 s57, s7, 0x2400                                  // 0000000050A0: 9239FF07 00002400
	s_add_u32 m0, s56, s57                                     // 0000000050A8: 807C3938
	buffer_load_dwordx4 v32, s[20:23], 0 offen lds             // 0000000050AC: E05D1000 80050020
	s_add_i32 m0, m0, 0x3c0                                    // 0000000050B4: 817CFF7C 000003C0
	v_mfma_f32_16x16x32_bf16 v[34:37], a[76:79], a[4:7], v[34:37]// 0000000050BC: D3B50022 1C8A094C
	buffer_load_dwordx4 v32, s[20:23], 0 offen offset:64 lds   // 0000000050C4: E05D1040 80050020
	s_add_i32 m0, m0, 0x3c0                                    // 0000000050CC: 817CFF7C 000003C0
	v_mfma_f32_16x16x32_bf16 v[34:37], a[80:83], a[8:11], v[34:37]// 0000000050D4: D3B50022 1C8A1150
	v_mul_f32_e32 v16, s5, v16                                 // 0000000050DC: 0A202005
	v_exp_f32_e32 v16, v16                                     // 0000000050E0: 7E204110
	v_mfma_f32_16x16x32_bf16 v[34:37], a[84:87], a[12:15], v[34:37]// 0000000050E4: D3B50022 1C8A1954
	v_add_u32_e32 v26, s73, v26                                // 0000000050EC: 68343449
	ds_read_b128 a[72:75], v20 offset:18432                    // 0000000050F0: DBFE4800 48000014
	ds_read_b128 a[76:79], v20 offset:19456                    // 0000000050F8: DBFE4C00 4C000014
	v_fma_f32 v42, v42, s5, -v29                               // 000000005100: D1CB002A 84740B2A
	v_mfma_f32_16x16x32_bf16 v[34:37], a[88:91], a[16:19], v[34:37]// 000000005108: D3B50022 1C8A2158
	ds_read_b128 a[80:83], v20 offset:20480                    // 000000005110: DBFE5000 50000014
	ds_read_b128 a[84:87], v20 offset:21504                    // 000000005118: DBFE5400 54000014
	v_fma_f32 v43, v43, s5, -v29                               // 000000005120: D1CB002B 84740B2B
	v_mfma_f32_16x16x32_bf16 v[34:37], a[92:95], a[20:23], v[34:37]// 000000005128: D3B50022 1C8A295C
	buffer_load_dwordx4 v32, s[20:23], 0 offen offset:128 lds  // 000000005130: E05D1080 80050020
	s_add_i32 m0, m0, 0x3c0                                    // 000000005138: 817CFF7C 000003C0
	v_mfma_f32_16x16x32_bf16 v[34:37], a[96:99], a[24:27], v[34:37]// 000000005140: D3B50022 1C8A3160
	v_fma_f32 v44, v44, s5, -v29                               // 000000005148: D1CB002C 84740B2C
	v_fma_f32 v45, v45, s5, -v29                               // 000000005150: D1CB002D 84740B2D
	v_mfma_f32_16x16x32_bf16 v[34:37], a[100:103], a[28:31], v[34:37]// 000000005158: D3B50022 1C8A3964
	ds_read_b128 a[88:91], v20 offset:22528                    // 000000005160: DBFE5800 58000014
	ds_read_b128 a[92:95], v20 offset:23552                    // 000000005168: DBFE5C00 5C000014
	v_fma_f32 v46, v46, s5, -v29                               // 000000005170: D1CB002E 84740B2E
	v_mfma_f32_16x16x32_bf16 v[34:37], a[104:107], a[32:35], v[34:37]// 000000005178: D3B50022 1C8A4168
	ds_read_b128 a[96:99], v20 offset:24576                    // 000000005180: DBFE6000 60000014
	ds_read_b128 a[100:103], v20 offset:25600                  // 000000005188: DBFE6400 64000014
	v_fma_f32 v47, v47, s5, -v29                               // 000000005190: D1CB002F 84740B2F
	v_mfma_f32_16x16x32_bf16 v[34:37], a[108:111], a[36:39], v[34:37]// 000000005198: D3B50022 1C8A496C
	buffer_load_dwordx4 v32, s[20:23], 0 offen offset:192 lds  // 0000000051A0: E05D10C0 80050020
	s_add_i32 m0, m0, 0x3c0                                    // 0000000051A8: 817CFF7C 000003C0
	v_mfma_f32_16x16x32_bf16 v[34:37], a[112:115], a[40:43], v[34:37]// 0000000051B0: D3B50022 1C8A5170
	v_fma_f32 v48, v48, s5, -v29                               // 0000000051B8: D1CB0030 84740B30
	v_fma_f32 v49, v49, s5, -v29                               // 0000000051C0: D1CB0031 84740B31
	v_mfma_f32_16x16x32_bf16 v[34:37], a[116:119], a[44:47], v[34:37]// 0000000051C8: D3B50022 1C8A5974
	v_exp_f32_e32 v42, v42                                     // 0000000051D0: 7E54412A
	v_mfma_f32_16x16x32_bf16 v[34:37], a[120:123], a[48:51], v[34:37]// 0000000051D4: D3B50022 1C8A6178
	ds_read_b128 a[104:107], v20 offset:26624                  // 0000000051DC: DBFE6800 68000014
	ds_read_b128 a[108:111], v20 offset:27648                  // 0000000051E4: DBFE6C00 6C000014
	v_exp_f32_e32 v43, v43                                     // 0000000051EC: 7E56412B
	v_mfma_f32_16x16x32_bf16 v[34:37], a[124:127], a[52:55], v[34:37]// 0000000051F0: D3B50022 1C8A697C
	buffer_load_dwordx4 v32, s[20:23], 0 offen offset:256 lds  // 0000000051F8: E05D1100 80050020
	s_add_i32 m0, m0, 0x3c0                                    // 000000005200: 817CFF7C 000003C0
	v_mfma_f32_16x16x32_bf16 v[34:37], a[128:131], a[56:59], v[34:37]// 000000005208: D3B50022 1C8A7180
	v_exp_f32_e32 v44, v44                                     // 000000005210: 7E58412C
	v_mfma_f32_16x16x32_bf16 v[34:37], a[132:135], a[60:63], v[34:37]// 000000005214: D3B50022 1C8A7984
	ds_read_b128 a[112:115], v20 offset:28672                  // 00000000521C: DBFE7000 70000014
	ds_read_b128 a[116:119], v20 offset:29696                  // 000000005224: DBFE7400 74000014
	v_exp_f32_e32 v45, v45                                     // 00000000522C: 7E5A412D
	v_mfma_f32_16x16x32_bf16 v[34:37], a[136:139], a[64:67], v[34:37]// 000000005230: D3B50022 1C8A8188
	ds_read_b128 a[120:123], v20 offset:30720                  // 000000005238: DBFE7800 78000014
	ds_read_b128 a[124:127], v20 offset:31744                  // 000000005240: DBFE7C00 7C000014
	v_exp_f32_e32 v46, v46                                     // 000000005248: 7E5C412E
	v_mfma_f32_16x16x32_bf16 v[34:37], a[140:143], a[68:71], v[34:37]// 00000000524C: D3B50022 1C8A898C
	ds_read_b128 a[128:131], v20 offset:32768                  // 000000005254: DBFE8000 80000014
	ds_read_b128 a[132:135], v20 offset:33792                  // 00000000525C: DBFE8400 84000014
	v_exp_f32_e32 v47, v47                                     // 000000005264: 7E5E412F
	ds_read_b128 a[136:139], v20 offset:34816                  // 000000005268: DBFE8800 88000014
	ds_read_b128 a[140:143], v20 offset:35840                  // 000000005270: DBFE8C00 8C000014
	v_exp_f32_e32 v48, v48                                     // 000000005278: 7E604130
	v_exp_f32_e32 v49, v49                                     // 00000000527C: 7E624131
	v_mul_f32_e32 v4, v16, v4                                  // 000000005280: 0A080910
	v_mov_b32_e32 v28, v42                                     // 000000005284: 7E38032A
	v_add_f32_e32 v28, v43, v28                                // 000000005288: 0238392B
	v_add_f32_e32 v28, v44, v28                                // 00000000528C: 0238392C
	v_add_f32_e32 v28, v45, v28                                // 000000005290: 0238392D
	v_add_f32_e32 v28, v46, v28                                // 000000005294: 0238392E
	v_add_f32_e32 v28, v47, v28                                // 000000005298: 0238392F
	v_add_f32_e32 v28, v48, v28                                // 00000000529C: 02383930
	v_add_f32_e32 v28, v49, v28                                // 0000000052A0: 02383931
	v_add_f32_e32 v4, v28, v4                                  // 0000000052A4: 0208091C
	v_cvt_pk_bf16_f32 v42, v42, v43                            // 0000000052A8: D268002A 0002572A
	v_cvt_pk_bf16_f32 v43, v44, v45                            // 0000000052B0: D268002B 00025B2C
	v_cvt_pk_bf16_f32 v44, v46, v47                            // 0000000052B8: D268002C 00025F2E
	v_cvt_pk_bf16_f32 v45, v48, v49                            // 0000000052C0: D268002D 00026330
	s_nop 0                                                    // 0000000052C8: BF800000
	v_permlane32_swap_b32_e32 v42, v44                         // 0000000052CC: 7E54B52C
	v_permlane32_swap_b32_e32 v43, v45                         // 0000000052D0: 7E56B52D
	s_nop 0                                                    // 0000000052D4: BF800000
	v_permlane16_swap_b32_e32 v42, v44                         // 0000000052D8: 7E54B32C
	v_permlane16_swap_b32_e32 v43, v45                         // 0000000052DC: 7E56B32D
	s_waitcnt lgkmcnt(0)                                       // 0000000052E0: BF8CC07F
	v_mfma_f32_16x16x32_bf16 v[38:41], a[72:75], a[0:3], 0     // 0000000052E4: D3B50026 1A020148
	v_mul_f32_e32 v50, v16, v50                                // 0000000052EC: 0A646510
	v_mul_f32_e32 v51, v16, v51                                // 0000000052F0: 0A666710
	ds_read_b64_tr_b16 a[144:145], v10                         // 0000000052F4: DBC60000 9000000A
	ds_read_b64_tr_b16 a[146:147], v10 offset:256              // 0000000052FC: DBC60100 9200000A
	v_mfma_f32_16x16x32_bf16 v[38:41], a[76:79], a[4:7], v[38:41]// 000000005304: D3B50026 1C9A094C
	buffer_load_dwordx4 v32, s[20:23], 0 offen offset:320 lds  // 00000000530C: E05D1140 80050020
	s_add_i32 m0, m0, 0x3c0                                    // 000000005314: 817CFF7C 000003C0
	v_mul_f32_e32 v52, v16, v52                                // 00000000531C: 0A686910
	v_mul_f32_e32 v53, v16, v53                                // 000000005320: 0A6A6B10
	v_mfma_f32_16x16x32_bf16 v[38:41], a[80:83], a[8:11], v[38:41]// 000000005324: D3B50026 1C9A1150
	v_mul_f32_e32 v54, v16, v54                                // 00000000532C: 0A6C6D10
	v_mul_f32_e32 v55, v16, v55                                // 000000005330: 0A6E6F10
	ds_read_b64_tr_b16 a[148:149], v11                         // 000000005334: DBC60000 9400000B
	ds_read_b64_tr_b16 a[150:151], v11 offset:256              // 00000000533C: DBC60100 9600000B
	v_mfma_f32_16x16x32_bf16 v[38:41], a[84:87], a[12:15], v[38:41]// 000000005344: D3B50026 1C9A1954
	v_mul_f32_e32 v56, v16, v56                                // 00000000534C: 0A707110
	v_mul_f32_e32 v57, v16, v57                                // 000000005350: 0A727310
	ds_read_b64_tr_b16 a[152:153], v10 offset:1024             // 000000005354: DBC60400 9800000A
	ds_read_b64_tr_b16 a[154:155], v10 offset:1280             // 00000000535C: DBC60500 9A00000A
	v_mfma_f32_16x16x32_bf16 v[38:41], a[88:91], a[16:19], v[38:41]// 000000005364: D3B50026 1C9A2158
	v_mul_f32_e32 v58, v16, v58                                // 00000000536C: 0A747510
	v_mul_f32_e32 v59, v16, v59                                // 000000005370: 0A767710
	ds_read_b64_tr_b16 a[156:157], v11 offset:1024             // 000000005374: DBC60400 9C00000B
	ds_read_b64_tr_b16 a[158:159], v11 offset:1280             // 00000000537C: DBC60500 9E00000B
	v_mfma_f32_16x16x32_bf16 v[38:41], a[92:95], a[20:23], v[38:41]// 000000005384: D3B50026 1C9A295C
	v_mul_f32_e32 v60, v16, v60                                // 00000000538C: 0A787910
	v_mul_f32_e32 v61, v16, v61                                // 000000005390: 0A7A7B10
	ds_read_b64_tr_b16 a[160:161], v10 offset:2048             // 000000005394: DBC60800 A000000A
	ds_read_b64_tr_b16 a[162:163], v10 offset:2304             // 00000000539C: DBC60900 A200000A
	v_mfma_f32_16x16x32_bf16 v[38:41], a[96:99], a[24:27], v[38:41]// 0000000053A4: D3B50026 1C9A3160
	v_mul_f32_e32 v62, v16, v62                                // 0000000053AC: 0A7C7D10
	v_mul_f32_e32 v63, v16, v63                                // 0000000053B0: 0A7E7F10
	ds_read_b64_tr_b16 a[164:165], v11 offset:2048             // 0000000053B4: DBC60800 A400000B
	ds_read_b64_tr_b16 a[166:167], v11 offset:2304             // 0000000053BC: DBC60900 A600000B
	v_mfma_f32_16x16x32_bf16 v[38:41], a[100:103], a[28:31], v[38:41]// 0000000053C4: D3B50026 1C9A3964
	buffer_load_dwordx4 v32, s[20:23], 0 offen offset:384 lds  // 0000000053CC: E05D1180 80050020
	s_add_i32 m0, m0, 0x3c0                                    // 0000000053D4: 817CFF7C 000003C0
	v_mfma_f32_16x16x32_bf16 v[38:41], a[104:107], a[32:35], v[38:41]// 0000000053DC: D3B50026 1C9A4168
	v_mul_f32_e32 v64, v16, v64                                // 0000000053E4: 0A808110
	v_mul_f32_e32 v65, v16, v65                                // 0000000053E8: 0A828310
	ds_read_b64_tr_b16 a[168:169], v10 offset:3072             // 0000000053EC: DBC60C00 A800000A
	ds_read_b64_tr_b16 a[170:171], v10 offset:3328             // 0000000053F4: DBC60D00 AA00000A
	v_mfma_f32_16x16x32_bf16 v[38:41], a[108:111], a[36:39], v[38:41]// 0000000053FC: D3B50026 1C9A496C
	v_mul_f32_e32 v66, v16, v66                                // 000000005404: 0A848510
	v_mul_f32_e32 v67, v16, v67                                // 000000005408: 0A868710
	ds_read_b64_tr_b16 a[172:173], v11 offset:3072             // 00000000540C: DBC60C00 AC00000B
	ds_read_b64_tr_b16 a[174:175], v11 offset:3328             // 000000005414: DBC60D00 AE00000B
	v_mfma_f32_16x16x32_bf16 v[38:41], a[112:115], a[40:43], v[38:41]// 00000000541C: D3B50026 1C9A5170
	v_mul_f32_e32 v68, v16, v68                                // 000000005424: 0A888910
	v_mul_f32_e32 v69, v16, v69                                // 000000005428: 0A8A8B10
	ds_read_b64_tr_b16 a[176:177], v10 offset:4096             // 00000000542C: DBC61000 B000000A
	ds_read_b64_tr_b16 a[178:179], v10 offset:4352             // 000000005434: DBC61100 B200000A
	v_mfma_f32_16x16x32_bf16 v[38:41], a[116:119], a[44:47], v[38:41]// 00000000543C: D3B50026 1C9A5974
	buffer_load_dwordx4 v32, s[20:23], 0 offen offset:448 lds  // 000000005444: E05D11C0 80050020
	s_add_i32 m0, m0, 0x3c0                                    // 00000000544C: 817CFF7C 000003C0
	v_mul_f32_e32 v70, v16, v70                                // 000000005454: 0A8C8D10
	v_mul_f32_e32 v71, v16, v71                                // 000000005458: 0A8E8F10
	v_mfma_f32_16x16x32_bf16 v[38:41], a[120:123], a[48:51], v[38:41]// 00000000545C: D3B50026 1C9A6178
	v_mul_f32_e32 v72, v16, v72                                // 000000005464: 0A909110
	v_mul_f32_e32 v73, v16, v73                                // 000000005468: 0A929310
	ds_read_b64_tr_b16 a[180:181], v11 offset:4096             // 00000000546C: DBC61000 B400000B
	ds_read_b64_tr_b16 a[182:183], v11 offset:4352             // 000000005474: DBC61100 B600000B
	v_mfma_f32_16x16x32_bf16 v[38:41], a[124:127], a[52:55], v[38:41]// 00000000547C: D3B50026 1C9A697C
	v_mul_f32_e32 v74, v16, v74                                // 000000005484: 0A949510
	v_mul_f32_e32 v75, v16, v75                                // 000000005488: 0A969710
	ds_read_b64_tr_b16 a[184:185], v10 offset:5120             // 00000000548C: DBC61400 B800000A
	ds_read_b64_tr_b16 a[186:187], v10 offset:5376             // 000000005494: DBC61500 BA00000A
	v_mfma_f32_16x16x32_bf16 v[38:41], a[128:131], a[56:59], v[38:41]// 00000000549C: D3B50026 1C9A7180
	v_mul_f32_e32 v76, v16, v76                                // 0000000054A4: 0A989910
	v_mul_f32_e32 v77, v16, v77                                // 0000000054A8: 0A9A9B10
	ds_read_b64_tr_b16 a[188:189], v11 offset:5120             // 0000000054AC: DBC61400 BC00000B
	ds_read_b64_tr_b16 a[190:191], v11 offset:5376             // 0000000054B4: DBC61500 BE00000B
	v_mfma_f32_16x16x32_bf16 v[38:41], a[132:135], a[60:63], v[38:41]// 0000000054BC: D3B50026 1C9A7984
	buffer_load_dwordx4 v32, s[20:23], 0 offen offset:512 lds  // 0000000054C4: E05D1200 80050020
	s_add_i32 m0, m0, 0x3c0                                    // 0000000054CC: 817CFF7C 000003C0
	v_mfma_f32_16x16x32_bf16 v[38:41], a[136:139], a[64:67], v[38:41]// 0000000054D4: D3B50026 1C9A8188
	v_mul_f32_e32 v78, v16, v78                                // 0000000054DC: 0A9C9D10
	v_mul_f32_e32 v79, v16, v79                                // 0000000054E0: 0A9E9F10
	ds_read_b64_tr_b16 a[192:193], v10 offset:6144             // 0000000054E4: DBC61800 C000000A
	ds_read_b64_tr_b16 a[194:195], v10 offset:6400             // 0000000054EC: DBC61900 C200000A
	ds_read_b64_tr_b16 a[196:197], v11 offset:6144             // 0000000054F4: DBC61800 C400000B
	ds_read_b64_tr_b16 a[198:199], v11 offset:6400             // 0000000054FC: DBC61900 C600000B
	ds_read_b64_tr_b16 a[200:201], v10 offset:7168             // 000000005504: DBC61C00 C800000A
	ds_read_b64_tr_b16 a[202:203], v10 offset:7424             // 00000000550C: DBC61D00 CA00000A
	ds_read_b64_tr_b16 a[204:205], v11 offset:7168             // 000000005514: DBC61C00 CC00000B
	ds_read_b64_tr_b16 a[206:207], v11 offset:7424             // 00000000551C: DBC61D00 CE00000B
	v_mov_b32_e32 v30, v16                                     // 000000005524: 7E3C0310
	v_mov_b32_e32 v31, v16                                     // 000000005528: 7E3E0310
	v_pk_mul_f32 v[80:81], v[30:31], v[80:81]                  // 00000000552C: D3B14050 1802A11E
	v_pk_mul_f32 v[82:83], v[30:31], v[82:83]                  // 000000005534: D3B14052 1802A51E
	v_pk_mul_f32 v[84:85], v[30:31], v[84:85]                  // 00000000553C: D3B14054 1802A91E
	v_pk_mul_f32 v[86:87], v[30:31], v[86:87]                  // 000000005544: D3B14056 1802AD1E
	v_pk_mul_f32 v[88:89], v[30:31], v[88:89]                  // 00000000554C: D3B14058 1802B11E
	v_pk_mul_f32 v[90:91], v[30:31], v[90:91]                  // 000000005554: D3B1405A 1802B51E
	v_pk_mul_f32 v[92:93], v[30:31], v[92:93]                  // 00000000555C: D3B1405C 1802B91E
	v_pk_mul_f32 v[94:95], v[30:31], v[94:95]                  // 000000005564: D3B1405E 1802BD1E
	v_pk_mul_f32 v[96:97], v[30:31], v[96:97]                  // 00000000556C: D3B14060 1802C11E
	v_pk_mul_f32 v[98:99], v[30:31], v[98:99]                  // 000000005574: D3B14062 1802C51E
	v_pk_mul_f32 v[100:101], v[30:31], v[100:101]              // 00000000557C: D3B14064 1802C91E
	v_pk_mul_f32 v[102:103], v[30:31], v[102:103]              // 000000005584: D3B14066 1802CD1E
	v_pk_mul_f32 v[104:105], v[30:31], v[104:105]              // 00000000558C: D3B14068 1802D11E
	v_pk_mul_f32 v[106:107], v[30:31], v[106:107]              // 000000005594: D3B1406A 1802D51E
	v_pk_mul_f32 v[108:109], v[30:31], v[108:109]              // 00000000559C: D3B1406C 1802D91E
	v_pk_mul_f32 v[110:111], v[30:31], v[110:111]              // 0000000055A4: D3B1406E 1802DD1E
	v_pk_mul_f32 v[112:113], v[30:31], v[112:113]              // 0000000055AC: D3B14070 1802E11E
	v_pk_mul_f32 v[114:115], v[30:31], v[114:115]              // 0000000055B4: D3B14072 1802E51E
	v_pk_mul_f32 v[116:117], v[30:31], v[116:117]              // 0000000055BC: D3B14074 1802E91E
	v_pk_mul_f32 v[118:119], v[30:31], v[118:119]              // 0000000055C4: D3B14076 1802ED1E
	v_pk_mul_f32 v[120:121], v[30:31], v[120:121]              // 0000000055CC: D3B14078 1802F11E
	v_pk_mul_f32 v[122:123], v[30:31], v[122:123]              // 0000000055D4: D3B1407A 1802F51E
	v_pk_mul_f32 v[124:125], v[30:31], v[124:125]              // 0000000055DC: D3B1407C 1802F91E
	v_pk_mul_f32 v[126:127], v[30:31], v[126:127]              // 0000000055E4: D3B1407E 1802FD1E
	v_pk_mul_f32 v[128:129], v[30:31], v[128:129]              // 0000000055EC: D3B14080 1803011E
	v_pk_mul_f32 v[130:131], v[30:31], v[130:131]              // 0000000055F4: D3B14082 1803051E
	v_pk_mul_f32 v[132:133], v[30:31], v[132:133]              // 0000000055FC: D3B14084 1803091E
	v_pk_mul_f32 v[134:135], v[30:31], v[134:135]              // 000000005604: D3B14086 18030D1E
	v_pk_mul_f32 v[136:137], v[30:31], v[136:137]              // 00000000560C: D3B14088 1803111E
	v_pk_mul_f32 v[138:139], v[30:31], v[138:139]              // 000000005614: D3B1408A 1803151E
	v_pk_mul_f32 v[140:141], v[30:31], v[140:141]              // 00000000561C: D3B1408C 1803191E
	v_pk_mul_f32 v[142:143], v[30:31], v[142:143]              // 000000005624: D3B1408E 18031D1E
	v_pk_mul_f32 v[144:145], v[30:31], v[144:145]              // 00000000562C: D3B14090 1803211E
	v_pk_mul_f32 v[146:147], v[30:31], v[146:147]              // 000000005634: D3B14092 1803251E
	v_pk_mul_f32 v[148:149], v[30:31], v[148:149]              // 00000000563C: D3B14094 1803291E
	v_pk_mul_f32 v[150:151], v[30:31], v[150:151]              // 000000005644: D3B14096 18032D1E
	v_pk_mul_f32 v[152:153], v[30:31], v[152:153]              // 00000000564C: D3B14098 1803311E
	v_pk_mul_f32 v[154:155], v[30:31], v[154:155]              // 000000005654: D3B1409A 1803351E
	v_pk_mul_f32 v[156:157], v[30:31], v[156:157]              // 00000000565C: D3B1409C 1803391E
	v_pk_mul_f32 v[158:159], v[30:31], v[158:159]              // 000000005664: D3B1409E 18033D1E
	v_pk_mul_f32 v[160:161], v[30:31], v[160:161]              // 00000000566C: D3B140A0 1803411E
	v_pk_mul_f32 v[162:163], v[30:31], v[162:163]              // 000000005674: D3B140A2 1803451E
	v_pk_mul_f32 v[164:165], v[30:31], v[164:165]              // 00000000567C: D3B140A4 1803491E
	v_pk_mul_f32 v[166:167], v[30:31], v[166:167]              // 000000005684: D3B140A6 18034D1E
	v_pk_mul_f32 v[168:169], v[30:31], v[168:169]              // 00000000568C: D3B140A8 1803511E
	v_pk_mul_f32 v[170:171], v[30:31], v[170:171]              // 000000005694: D3B140AA 1803551E
	v_pk_mul_f32 v[172:173], v[30:31], v[172:173]              // 00000000569C: D3B140AC 1803591E
	v_pk_mul_f32 v[174:175], v[30:31], v[174:175]              // 0000000056A4: D3B140AE 18035D1E
	v_pk_mul_f32 v[176:177], v[30:31], v[176:177]              // 0000000056AC: D3B140B0 1803611E
	v_mfma_f32_16x16x32_bf16 v[38:41], a[140:143], a[68:71], v[38:41]// 0000000056B4: D3B50026 1C9A898C
	s_addk_i32 s70, 0x1                                        // 0000000056BC: B7460001
	s_cmp_lt_i32 s70, s71                                      // 0000000056C0: BF044746
	s_cbranch_scc0 label_3B3C                                  // 0000000056C4: BF84025D
	s_waitcnt lgkmcnt(0)                                       // 0000000056C8: BF8CC07F
	v_mul_u32_u24_e64 v32, v25, s68                            // 0000000056CC: D1080020 00008919
	v_add_u32_e32 v32, v32, v1                                 // 0000000056D4: 68400320
	v_mfma_f32_16x16x32_bf16 v[50:53], a[144:147], v[42:45], v[50:53]// 0000000056D8: D3B50032 0CCA5590
	v_mov_b32_e32 v29, v34                                     // 0000000056E0: 7E3A0322
	v_max3_f32 v29, v34, v35, v29                              // 0000000056E4: D1D3001D 04764722
	v_mfma_f32_16x16x32_bf16 v[54:57], a[148:151], v[42:45], v[54:57]// 0000000056EC: D3B50036 0CDA5594
	ds_read_b64_tr_b16 a[144:145], v10 offset:8192             // 0000000056F4: DBC62000 9000000A
	ds_read_b64_tr_b16 a[146:147], v10 offset:8448             // 0000000056FC: DBC62100 9200000A
	v_mfma_f32_16x16x32_bf16 v[58:61], a[152:155], v[42:45], v[58:61]// 000000005704: D3B5003A 0CEA5598
	v_max3_f32 v29, v36, v37, v29                              // 00000000570C: D1D3001D 04764B24
	v_max3_f32 v29, v38, v39, v29                              // 000000005714: D1D3001D 04764F26
	v_mfma_f32_16x16x32_bf16 v[62:65], a[156:159], v[42:45], v[62:65]// 00000000571C: D3B5003E 0CFA559C
	ds_read_b64_tr_b16 a[148:149], v11 offset:8192             // 000000005724: DBC62000 9400000B
	ds_read_b64_tr_b16 a[150:151], v11 offset:8448             // 00000000572C: DBC62100 9600000B
	v_mfma_f32_16x16x32_bf16 v[66:69], a[160:163], v[42:45], v[66:69]// 000000005734: D3B50042 0D0A55A0
	v_max3_f32 v29, v40, v41, v29                              // 00000000573C: D1D3001D 04765328
	v_mov_b32_e32 v28, v29                                     // 000000005744: 7E38031D
	v_mfma_f32_16x16x32_bf16 v[70:73], a[164:167], v[42:45], v[70:73]// 000000005748: D3B50046 0D1A55A4
	ds_read_b64_tr_b16 a[152:153], v10 offset:9216             // 000000005750: DBC62400 9800000A
	ds_read_b64_tr_b16 a[154:155], v10 offset:9472             // 000000005758: DBC62500 9A00000A
	v_mfma_f32_16x16x32_bf16 v[74:77], a[168:171], v[42:45], v[74:77]// 000000005760: D3B5004A 0D2A55A8
	v_mov_b32_e32 v29, v29                                     // 000000005768: 7E3A031D
	s_nop 1                                                    // 00000000576C: BF800001
	v_mfma_f32_16x16x32_bf16 v[78:81], a[172:175], v[42:45], v[78:81]// 000000005770: D3B5004E 0D3A55AC
	ds_read_b64_tr_b16 a[156:157], v11 offset:9216             // 000000005778: DBC62400 9C00000B
	ds_read_b64_tr_b16 a[158:159], v11 offset:9472             // 000000005780: DBC62500 9E00000B
	v_mfma_f32_16x16x32_bf16 v[82:85], a[176:179], v[42:45], v[82:85]// 000000005788: D3B50052 0D4A55B0
	v_permlane16_swap_b32_e32 v28, v29                         // 000000005790: 7E38B31D
	v_mfma_f32_16x16x32_bf16 v[86:89], a[180:183], v[42:45], v[86:89]// 000000005794: D3B50056 0D5A55B4
	ds_read_b64_tr_b16 a[160:161], v10 offset:10240            // 00000000579C: DBC62800 A000000A
	ds_read_b64_tr_b16 a[162:163], v10 offset:10496            // 0000000057A4: DBC62900 A200000A
	v_mfma_f32_16x16x32_bf16 v[90:93], a[184:187], v[42:45], v[90:93]// 0000000057AC: D3B5005A 0D6A55B8
	v_mov_b32_e32 v31, v28                                     // 0000000057B4: 7E3E031C
	v_mov_b32_e32 v30, v29                                     // 0000000057B8: 7E3C031D
	v_mfma_f32_16x16x32_bf16 v[94:97], a[188:191], v[42:45], v[94:97]// 0000000057BC: D3B5005E 0D7A55BC
	ds_read_b64_tr_b16 a[164:165], v11 offset:10240            // 0000000057C4: DBC62800 A400000B
	ds_read_b64_tr_b16 a[166:167], v11 offset:10496            // 0000000057CC: DBC62900 A600000B
	v_mfma_f32_16x16x32_bf16 v[98:101], a[192:195], v[42:45], v[98:101]// 0000000057D4: D3B50062 0D8A55C0
	s_nop 1                                                    // 0000000057DC: BF800001
	v_permlane32_swap_b32_e32 v28, v29                         // 0000000057E0: 7E38B51D
	v_mfma_f32_16x16x32_bf16 v[102:105], a[196:199], v[42:45], v[102:105]// 0000000057E4: D3B50066 0D9A55C4
	ds_read_b64_tr_b16 a[168:169], v10 offset:11264            // 0000000057EC: DBC62C00 A800000A
	ds_read_b64_tr_b16 a[170:171], v10 offset:11520            // 0000000057F4: DBC62D00 AA00000A
	v_mfma_f32_16x16x32_bf16 v[106:109], a[200:203], v[42:45], v[106:109]// 0000000057FC: D3B5006A 0DAA55C8
	v_permlane32_swap_b32_e32 v30, v31                         // 000000005804: 7E3CB51F
	v_mfma_f32_16x16x32_bf16 v[110:113], a[204:207], v[42:45], v[110:113]// 000000005808: D3B5006E 0DBA55CC
	ds_read_b64_tr_b16 a[172:173], v11 offset:11264            // 000000005810: DBC62C00 AC00000B
	ds_read_b64_tr_b16 a[174:175], v11 offset:11520            // 000000005818: DBC62D00 AE00000B
	ds_read_b64_tr_b16 a[176:177], v10 offset:12288            // 000000005820: DBC63000 B000000A
	ds_read_b64_tr_b16 a[178:179], v10 offset:12544            // 000000005828: DBC63100 B200000A
	ds_read_b64_tr_b16 a[180:181], v11 offset:12288            // 000000005830: DBC63000 B400000B
	ds_read_b64_tr_b16 a[182:183], v11 offset:12544            // 000000005838: DBC63100 B600000B
	ds_read_b64_tr_b16 a[184:185], v10 offset:13312            // 000000005840: DBC63400 B800000A
	ds_read_b64_tr_b16 a[186:187], v10 offset:13568            // 000000005848: DBC63500 BA00000A
	ds_read_b64_tr_b16 a[188:189], v11 offset:13312            // 000000005850: DBC63400 BC00000B
	ds_read_b64_tr_b16 a[190:191], v11 offset:13568            // 000000005858: DBC63500 BE00000B
	s_waitcnt lgkmcnt(0)                                       // 000000005860: BF8CC07F
	v_mfma_f32_16x16x32_bf16 v[114:117], a[144:147], v[42:45], v[114:117]// 000000005864: D3B50072 0DCA5590
	ds_read_b64_tr_b16 a[192:193], v10 offset:14336            // 00000000586C: DBC63800 C000000A
	ds_read_b64_tr_b16 a[194:195], v10 offset:14592            // 000000005874: DBC63900 C200000A
	v_mfma_f32_16x16x32_bf16 v[118:121], a[148:151], v[42:45], v[118:121]// 00000000587C: D3B50076 0DDA5594
	s_waitcnt vmcnt(10)                                        // 000000005884: BF8C0F7A
	s_barrier                                                  // 000000005888: BF8A0000
	ds_read_b128 a[72:75], v21                                 // 00000000588C: DBFE0000 48000015
	ds_read_b128 a[76:79], v21 offset:1024                     // 000000005894: DBFE0400 4C000015
	v_mfma_f32_16x16x32_bf16 v[122:125], a[152:155], v[42:45], v[122:125]// 00000000589C: D3B5007A 0DEA5598
	ds_read_b64_tr_b16 a[196:197], v11 offset:14336            // 0000000058A4: DBC63800 C400000B
	ds_read_b64_tr_b16 a[198:199], v11 offset:14592            // 0000000058AC: DBC63900 C600000B
	v_mfma_f32_16x16x32_bf16 v[126:129], a[156:159], v[42:45], v[126:129]// 0000000058B4: D3B5007E 0DFA559C
	ds_read_b128 a[80:83], v21 offset:2048                     // 0000000058BC: DBFE0800 50000015
	ds_read_b128 a[84:87], v21 offset:3072                     // 0000000058C4: DBFE0C00 54000015
	v_mfma_f32_16x16x32_bf16 v[130:133], a[160:163], v[42:45], v[130:133]// 0000000058CC: D3B50082 0E0A55A0
	ds_read_b64_tr_b16 a[200:201], v10 offset:15360            // 0000000058D4: DBC63C00 C800000A
	ds_read_b64_tr_b16 a[202:203], v10 offset:15616            // 0000000058DC: DBC63D00 CA00000A
	v_mfma_f32_16x16x32_bf16 v[134:137], a[164:167], v[42:45], v[134:137]// 0000000058E4: D3B50086 0E1A55A4
	ds_read_b128 a[88:91], v21 offset:4096                     // 0000000058EC: DBFE1000 58000015
	ds_read_b128 a[92:95], v21 offset:5120                     // 0000000058F4: DBFE1400 5C000015
	v_mfma_f32_16x16x32_bf16 v[138:141], a[168:171], v[42:45], v[138:141]// 0000000058FC: D3B5008A 0E2A55A8
	ds_read_b64_tr_b16 a[204:205], v11 offset:15360            // 000000005904: DBC63C00 CC00000B
	ds_read_b64_tr_b16 a[206:207], v11 offset:15616            // 00000000590C: DBC63D00 CE00000B
	v_mfma_f32_16x16x32_bf16 v[142:145], a[172:175], v[42:45], v[142:145]// 000000005914: D3B5008E 0E3A55AC
	ds_read_b128 a[96:99], v21 offset:6144                     // 00000000591C: DBFE1800 60000015
	ds_read_b128 a[100:103], v21 offset:7168                   // 000000005924: DBFE1C00 64000015
	v_mfma_f32_16x16x32_bf16 v[146:149], a[176:179], v[42:45], v[146:149]// 00000000592C: D3B50092 0E4A55B0
	v_max3_f32 v29, v28, v29, v29                              // 000000005934: D1D3001D 04763B1C
	v_max3_f32 v29, v30, v31, v29                              // 00000000593C: D1D3001D 04763F1E
	v_mfma_f32_16x16x32_bf16 v[150:153], a[180:183], v[42:45], v[150:153]// 000000005944: D3B50096 0E5A55B4
	ds_read_b128 a[104:107], v21 offset:8192                   // 00000000594C: DBFE2000 68000015
	ds_read_b128 a[108:111], v21 offset:9216                   // 000000005954: DBFE2400 6C000015
	v_mfma_f32_16x16x32_bf16 v[154:157], a[184:187], v[42:45], v[154:157]// 00000000595C: D3B5009A 0E6A55B8
	v_mov_b32_e32 v28, 0xff800000                              // 000000005964: 7E3802FF FF800000
	v_cmp_eq_u32_e64 s[36:37], v28, v2                         // 00000000596C: D0CA0024 0002051C
	v_mfma_f32_16x16x32_bf16 v[158:161], a[188:191], v[42:45], v[158:161]// 000000005974: D3B5009E 0E7A55BC
	ds_read_b128 a[112:115], v21 offset:10240                  // 00000000597C: DBFE2800 70000015
	ds_read_b128 a[116:119], v21 offset:11264                  // 000000005984: DBFE2C00 74000015
	v_mfma_f32_16x16x32_bf16 v[162:165], a[192:195], v[42:45], v[162:165]// 00000000598C: D3B500A2 0E8A55C0
	v_max_f32_e32 v29, v29, v2                                 // 000000005994: 163A051D
	v_sub_f32_e32 v16, v2, v29                                 // 000000005998: 04203B02
	v_mfma_f32_16x16x32_bf16 v[166:169], a[196:199], v[42:45], v[166:169]// 00000000599C: D3B500A6 0E9A55C4
	ds_read_b128 a[120:123], v21 offset:12288                  // 0000000059A4: DBFE3000 78000015
	ds_read_b128 a[124:127], v21 offset:13312                  // 0000000059AC: DBFE3400 7C000015
	v_mfma_f32_16x16x32_bf16 v[170:173], a[200:203], v[42:45], v[170:173]// 0000000059B4: D3B500AA 0EAA55C8
	v_cndmask_b32_e64 v16, v16, 0, s[36:37]                    // 0000000059BC: D1000010 00910110
	v_mov_b32_e32 v2, v29                                      // 0000000059C4: 7E04031D
	v_mfma_f32_16x16x32_bf16 v[174:177], a[204:207], v[42:45], v[174:177]// 0000000059C8: D3B500AE 0EBA55CC
	ds_read_b128 a[128:131], v21 offset:14336                  // 0000000059D0: DBFE3800 80000015
	ds_read_b128 a[132:135], v21 offset:15360                  // 0000000059D8: DBFE3C00 84000015
	ds_read_b128 a[136:139], v21 offset:16384                  // 0000000059E0: DBFE4000 88000015
	ds_read_b128 a[140:143], v21 offset:17408                  // 0000000059E8: DBFE4400 8C000015
	s_waitcnt lgkmcnt(0)                                       // 0000000059F0: BF8CC07F
	v_mfma_f32_16x16x32_bf16 v[42:45], a[72:75], a[0:3], 0     // 0000000059F4: D3B5002A 1A020148
	buffer_load_dword v23, v26, s[24:27], 0 offen              // 0000000059FC: E0501000 8006171A
	v_mul_f32_e32 v29, s5, v29                                 // 000000005A04: 0A3A3A05
	s_mov_b32 s56, 0xb000                                      // 000000005A08: BEB800FF 0000B000
	s_mul_i32 s57, s7, 0x2400                                  // 000000005A10: 9239FF07 00002400
	s_add_u32 m0, s56, s57                                     // 000000005A18: 807C3938
	buffer_load_dwordx4 v32, s[20:23], 0 offen lds             // 000000005A1C: E05D1000 80050020
	s_add_i32 m0, m0, 0x3c0                                    // 000000005A24: 817CFF7C 000003C0
	v_mfma_f32_16x16x32_bf16 v[42:45], a[76:79], a[4:7], v[42:45]// 000000005A2C: D3B5002A 1CAA094C
	buffer_load_dwordx4 v32, s[20:23], 0 offen offset:64 lds   // 000000005A34: E05D1040 80050020
	s_add_i32 m0, m0, 0x3c0                                    // 000000005A3C: 817CFF7C 000003C0
	v_mfma_f32_16x16x32_bf16 v[42:45], a[80:83], a[8:11], v[42:45]// 000000005A44: D3B5002A 1CAA1150
	v_mul_f32_e32 v16, s5, v16                                 // 000000005A4C: 0A202005
	v_exp_f32_e32 v16, v16                                     // 000000005A50: 7E204110
	v_mfma_f32_16x16x32_bf16 v[42:45], a[84:87], a[12:15], v[42:45]// 000000005A54: D3B5002A 1CAA1954
	v_add_u32_e32 v26, s73, v26                                // 000000005A5C: 68343449
	ds_read_b128 a[72:75], v21 offset:18432                    // 000000005A60: DBFE4800 48000015
	ds_read_b128 a[76:79], v21 offset:19456                    // 000000005A68: DBFE4C00 4C000015
	v_fma_f32 v34, v34, s5, -v29                               // 000000005A70: D1CB0022 84740B22
	v_mfma_f32_16x16x32_bf16 v[42:45], a[88:91], a[16:19], v[42:45]// 000000005A78: D3B5002A 1CAA2158
	ds_read_b128 a[80:83], v21 offset:20480                    // 000000005A80: DBFE5000 50000015
	ds_read_b128 a[84:87], v21 offset:21504                    // 000000005A88: DBFE5400 54000015
	v_fma_f32 v35, v35, s5, -v29                               // 000000005A90: D1CB0023 84740B23
	v_mfma_f32_16x16x32_bf16 v[42:45], a[92:95], a[20:23], v[42:45]// 000000005A98: D3B5002A 1CAA295C
	buffer_load_dwordx4 v32, s[20:23], 0 offen offset:128 lds  // 000000005AA0: E05D1080 80050020
	s_add_i32 m0, m0, 0x3c0                                    // 000000005AA8: 817CFF7C 000003C0
	v_mfma_f32_16x16x32_bf16 v[42:45], a[96:99], a[24:27], v[42:45]// 000000005AB0: D3B5002A 1CAA3160
	v_fma_f32 v36, v36, s5, -v29                               // 000000005AB8: D1CB0024 84740B24
	v_fma_f32 v37, v37, s5, -v29                               // 000000005AC0: D1CB0025 84740B25
	v_mfma_f32_16x16x32_bf16 v[42:45], a[100:103], a[28:31], v[42:45]// 000000005AC8: D3B5002A 1CAA3964
	ds_read_b128 a[88:91], v21 offset:22528                    // 000000005AD0: DBFE5800 58000015
	ds_read_b128 a[92:95], v21 offset:23552                    // 000000005AD8: DBFE5C00 5C000015
	v_fma_f32 v38, v38, s5, -v29                               // 000000005AE0: D1CB0026 84740B26
	v_mfma_f32_16x16x32_bf16 v[42:45], a[104:107], a[32:35], v[42:45]// 000000005AE8: D3B5002A 1CAA4168
	ds_read_b128 a[96:99], v21 offset:24576                    // 000000005AF0: DBFE6000 60000015
	ds_read_b128 a[100:103], v21 offset:25600                  // 000000005AF8: DBFE6400 64000015
	v_fma_f32 v39, v39, s5, -v29                               // 000000005B00: D1CB0027 84740B27
	v_mfma_f32_16x16x32_bf16 v[42:45], a[108:111], a[36:39], v[42:45]// 000000005B08: D3B5002A 1CAA496C
	buffer_load_dwordx4 v32, s[20:23], 0 offen offset:192 lds  // 000000005B10: E05D10C0 80050020
	s_add_i32 m0, m0, 0x3c0                                    // 000000005B18: 817CFF7C 000003C0
	v_mfma_f32_16x16x32_bf16 v[42:45], a[112:115], a[40:43], v[42:45]// 000000005B20: D3B5002A 1CAA5170
	v_fma_f32 v40, v40, s5, -v29                               // 000000005B28: D1CB0028 84740B28
	v_fma_f32 v41, v41, s5, -v29                               // 000000005B30: D1CB0029 84740B29
	v_mfma_f32_16x16x32_bf16 v[42:45], a[116:119], a[44:47], v[42:45]// 000000005B38: D3B5002A 1CAA5974
	v_exp_f32_e32 v34, v34                                     // 000000005B40: 7E444122
	v_mfma_f32_16x16x32_bf16 v[42:45], a[120:123], a[48:51], v[42:45]// 000000005B44: D3B5002A 1CAA6178
	ds_read_b128 a[104:107], v21 offset:26624                  // 000000005B4C: DBFE6800 68000015
	ds_read_b128 a[108:111], v21 offset:27648                  // 000000005B54: DBFE6C00 6C000015
	v_exp_f32_e32 v35, v35                                     // 000000005B5C: 7E464123
	v_mfma_f32_16x16x32_bf16 v[42:45], a[124:127], a[52:55], v[42:45]// 000000005B60: D3B5002A 1CAA697C
	buffer_load_dwordx4 v32, s[20:23], 0 offen offset:256 lds  // 000000005B68: E05D1100 80050020
	s_add_i32 m0, m0, 0x3c0                                    // 000000005B70: 817CFF7C 000003C0
	v_mfma_f32_16x16x32_bf16 v[42:45], a[128:131], a[56:59], v[42:45]// 000000005B78: D3B5002A 1CAA7180
	v_exp_f32_e32 v36, v36                                     // 000000005B80: 7E484124
	v_mfma_f32_16x16x32_bf16 v[42:45], a[132:135], a[60:63], v[42:45]// 000000005B84: D3B5002A 1CAA7984
	ds_read_b128 a[112:115], v21 offset:28672                  // 000000005B8C: DBFE7000 70000015
	ds_read_b128 a[116:119], v21 offset:29696                  // 000000005B94: DBFE7400 74000015
	v_exp_f32_e32 v37, v37                                     // 000000005B9C: 7E4A4125
	v_mfma_f32_16x16x32_bf16 v[42:45], a[136:139], a[64:67], v[42:45]// 000000005BA0: D3B5002A 1CAA8188
	ds_read_b128 a[120:123], v21 offset:30720                  // 000000005BA8: DBFE7800 78000015
	ds_read_b128 a[124:127], v21 offset:31744                  // 000000005BB0: DBFE7C00 7C000015
	v_exp_f32_e32 v38, v38                                     // 000000005BB8: 7E4C4126
	v_mfma_f32_16x16x32_bf16 v[42:45], a[140:143], a[68:71], v[42:45]// 000000005BBC: D3B5002A 1CAA898C
	ds_read_b128 a[128:131], v21 offset:32768                  // 000000005BC4: DBFE8000 80000015
	ds_read_b128 a[132:135], v21 offset:33792                  // 000000005BCC: DBFE8400 84000015
	v_exp_f32_e32 v39, v39                                     // 000000005BD4: 7E4E4127
	ds_read_b128 a[136:139], v21 offset:34816                  // 000000005BD8: DBFE8800 88000015
	ds_read_b128 a[140:143], v21 offset:35840                  // 000000005BE0: DBFE8C00 8C000015
	v_exp_f32_e32 v40, v40                                     // 000000005BE8: 7E504128
	v_exp_f32_e32 v41, v41                                     // 000000005BEC: 7E524129
	v_mul_f32_e32 v4, v16, v4                                  // 000000005BF0: 0A080910
	v_mov_b32_e32 v28, v34                                     // 000000005BF4: 7E380322
	v_add_f32_e32 v28, v35, v28                                // 000000005BF8: 02383923
	v_add_f32_e32 v28, v36, v28                                // 000000005BFC: 02383924
	v_add_f32_e32 v28, v37, v28                                // 000000005C00: 02383925
	v_add_f32_e32 v28, v38, v28                                // 000000005C04: 02383926
	v_add_f32_e32 v28, v39, v28                                // 000000005C08: 02383927
	v_add_f32_e32 v28, v40, v28                                // 000000005C0C: 02383928
	v_add_f32_e32 v28, v41, v28                                // 000000005C10: 02383929
	v_add_f32_e32 v4, v28, v4                                  // 000000005C14: 0208091C
	v_cvt_pk_bf16_f32 v34, v34, v35                            // 000000005C18: D2680022 00024722
	v_cvt_pk_bf16_f32 v35, v36, v37                            // 000000005C20: D2680023 00024B24
	v_cvt_pk_bf16_f32 v36, v38, v39                            // 000000005C28: D2680024 00024F26
	v_cvt_pk_bf16_f32 v37, v40, v41                            // 000000005C30: D2680025 00025328
	s_nop 0                                                    // 000000005C38: BF800000
	v_permlane32_swap_b32_e32 v34, v36                         // 000000005C3C: 7E44B524
	v_permlane32_swap_b32_e32 v35, v37                         // 000000005C40: 7E46B525
	s_nop 0                                                    // 000000005C44: BF800000
	v_permlane16_swap_b32_e32 v34, v36                         // 000000005C48: 7E44B324
	v_permlane16_swap_b32_e32 v35, v37                         // 000000005C4C: 7E46B325
	s_waitcnt lgkmcnt(0)                                       // 000000005C50: BF8CC07F
	v_mfma_f32_16x16x32_bf16 v[46:49], a[72:75], a[0:3], 0     // 000000005C54: D3B5002E 1A020148
	v_mul_f32_e32 v50, v16, v50                                // 000000005C5C: 0A646510
	v_mul_f32_e32 v51, v16, v51                                // 000000005C60: 0A666710
	ds_read_b64_tr_b16 a[144:145], v12                         // 000000005C64: DBC60000 9000000C
	ds_read_b64_tr_b16 a[146:147], v12 offset:256              // 000000005C6C: DBC60100 9200000C
	v_mfma_f32_16x16x32_bf16 v[46:49], a[76:79], a[4:7], v[46:49]// 000000005C74: D3B5002E 1CBA094C
	buffer_load_dwordx4 v32, s[20:23], 0 offen offset:320 lds  // 000000005C7C: E05D1140 80050020
	s_add_i32 m0, m0, 0x3c0                                    // 000000005C84: 817CFF7C 000003C0
	v_mul_f32_e32 v52, v16, v52                                // 000000005C8C: 0A686910
	v_mul_f32_e32 v53, v16, v53                                // 000000005C90: 0A6A6B10
	v_mfma_f32_16x16x32_bf16 v[46:49], a[80:83], a[8:11], v[46:49]// 000000005C94: D3B5002E 1CBA1150
	v_mul_f32_e32 v54, v16, v54                                // 000000005C9C: 0A6C6D10
	v_mul_f32_e32 v55, v16, v55                                // 000000005CA0: 0A6E6F10
	ds_read_b64_tr_b16 a[148:149], v13                         // 000000005CA4: DBC60000 9400000D
	ds_read_b64_tr_b16 a[150:151], v13 offset:256              // 000000005CAC: DBC60100 9600000D
	v_mfma_f32_16x16x32_bf16 v[46:49], a[84:87], a[12:15], v[46:49]// 000000005CB4: D3B5002E 1CBA1954
	v_mul_f32_e32 v56, v16, v56                                // 000000005CBC: 0A707110
	v_mul_f32_e32 v57, v16, v57                                // 000000005CC0: 0A727310
	ds_read_b64_tr_b16 a[152:153], v12 offset:1024             // 000000005CC4: DBC60400 9800000C
	ds_read_b64_tr_b16 a[154:155], v12 offset:1280             // 000000005CCC: DBC60500 9A00000C
	v_mfma_f32_16x16x32_bf16 v[46:49], a[88:91], a[16:19], v[46:49]// 000000005CD4: D3B5002E 1CBA2158
	v_mul_f32_e32 v58, v16, v58                                // 000000005CDC: 0A747510
	v_mul_f32_e32 v59, v16, v59                                // 000000005CE0: 0A767710
	ds_read_b64_tr_b16 a[156:157], v13 offset:1024             // 000000005CE4: DBC60400 9C00000D
	ds_read_b64_tr_b16 a[158:159], v13 offset:1280             // 000000005CEC: DBC60500 9E00000D
	v_mfma_f32_16x16x32_bf16 v[46:49], a[92:95], a[20:23], v[46:49]// 000000005CF4: D3B5002E 1CBA295C
	v_mul_f32_e32 v60, v16, v60                                // 000000005CFC: 0A787910
	v_mul_f32_e32 v61, v16, v61                                // 000000005D00: 0A7A7B10
	ds_read_b64_tr_b16 a[160:161], v12 offset:2048             // 000000005D04: DBC60800 A000000C
	ds_read_b64_tr_b16 a[162:163], v12 offset:2304             // 000000005D0C: DBC60900 A200000C
	v_mfma_f32_16x16x32_bf16 v[46:49], a[96:99], a[24:27], v[46:49]// 000000005D14: D3B5002E 1CBA3160
	v_mul_f32_e32 v62, v16, v62                                // 000000005D1C: 0A7C7D10
	v_mul_f32_e32 v63, v16, v63                                // 000000005D20: 0A7E7F10
	ds_read_b64_tr_b16 a[164:165], v13 offset:2048             // 000000005D24: DBC60800 A400000D
	ds_read_b64_tr_b16 a[166:167], v13 offset:2304             // 000000005D2C: DBC60900 A600000D
	v_mfma_f32_16x16x32_bf16 v[46:49], a[100:103], a[28:31], v[46:49]// 000000005D34: D3B5002E 1CBA3964
	buffer_load_dwordx4 v32, s[20:23], 0 offen offset:384 lds  // 000000005D3C: E05D1180 80050020
	s_add_i32 m0, m0, 0x3c0                                    // 000000005D44: 817CFF7C 000003C0
	v_mfma_f32_16x16x32_bf16 v[46:49], a[104:107], a[32:35], v[46:49]// 000000005D4C: D3B5002E 1CBA4168
	v_mul_f32_e32 v64, v16, v64                                // 000000005D54: 0A808110
	v_mul_f32_e32 v65, v16, v65                                // 000000005D58: 0A828310
	ds_read_b64_tr_b16 a[168:169], v12 offset:3072             // 000000005D5C: DBC60C00 A800000C
	ds_read_b64_tr_b16 a[170:171], v12 offset:3328             // 000000005D64: DBC60D00 AA00000C
	v_mfma_f32_16x16x32_bf16 v[46:49], a[108:111], a[36:39], v[46:49]// 000000005D6C: D3B5002E 1CBA496C
	v_mul_f32_e32 v66, v16, v66                                // 000000005D74: 0A848510
	v_mul_f32_e32 v67, v16, v67                                // 000000005D78: 0A868710
	ds_read_b64_tr_b16 a[172:173], v13 offset:3072             // 000000005D7C: DBC60C00 AC00000D
	ds_read_b64_tr_b16 a[174:175], v13 offset:3328             // 000000005D84: DBC60D00 AE00000D
	v_mfma_f32_16x16x32_bf16 v[46:49], a[112:115], a[40:43], v[46:49]// 000000005D8C: D3B5002E 1CBA5170
	v_mul_f32_e32 v68, v16, v68                                // 000000005D94: 0A888910
	v_mul_f32_e32 v69, v16, v69                                // 000000005D98: 0A8A8B10
	ds_read_b64_tr_b16 a[176:177], v12 offset:4096             // 000000005D9C: DBC61000 B000000C
	ds_read_b64_tr_b16 a[178:179], v12 offset:4352             // 000000005DA4: DBC61100 B200000C
	v_mfma_f32_16x16x32_bf16 v[46:49], a[116:119], a[44:47], v[46:49]// 000000005DAC: D3B5002E 1CBA5974
	buffer_load_dwordx4 v32, s[20:23], 0 offen offset:448 lds  // 000000005DB4: E05D11C0 80050020
	s_add_i32 m0, m0, 0x3c0                                    // 000000005DBC: 817CFF7C 000003C0
	v_mul_f32_e32 v70, v16, v70                                // 000000005DC4: 0A8C8D10
	v_mul_f32_e32 v71, v16, v71                                // 000000005DC8: 0A8E8F10
	v_mfma_f32_16x16x32_bf16 v[46:49], a[120:123], a[48:51], v[46:49]// 000000005DCC: D3B5002E 1CBA6178
	v_mul_f32_e32 v72, v16, v72                                // 000000005DD4: 0A909110
	v_mul_f32_e32 v73, v16, v73                                // 000000005DD8: 0A929310
	ds_read_b64_tr_b16 a[180:181], v13 offset:4096             // 000000005DDC: DBC61000 B400000D
	ds_read_b64_tr_b16 a[182:183], v13 offset:4352             // 000000005DE4: DBC61100 B600000D
	v_mfma_f32_16x16x32_bf16 v[46:49], a[124:127], a[52:55], v[46:49]// 000000005DEC: D3B5002E 1CBA697C
	v_mul_f32_e32 v74, v16, v74                                // 000000005DF4: 0A949510
	v_mul_f32_e32 v75, v16, v75                                // 000000005DF8: 0A969710
	ds_read_b64_tr_b16 a[184:185], v12 offset:5120             // 000000005DFC: DBC61400 B800000C
	ds_read_b64_tr_b16 a[186:187], v12 offset:5376             // 000000005E04: DBC61500 BA00000C
	v_mfma_f32_16x16x32_bf16 v[46:49], a[128:131], a[56:59], v[46:49]// 000000005E0C: D3B5002E 1CBA7180
	v_mul_f32_e32 v76, v16, v76                                // 000000005E14: 0A989910
	v_mul_f32_e32 v77, v16, v77                                // 000000005E18: 0A9A9B10
	ds_read_b64_tr_b16 a[188:189], v13 offset:5120             // 000000005E1C: DBC61400 BC00000D
	ds_read_b64_tr_b16 a[190:191], v13 offset:5376             // 000000005E24: DBC61500 BE00000D
	v_mfma_f32_16x16x32_bf16 v[46:49], a[132:135], a[60:63], v[46:49]// 000000005E2C: D3B5002E 1CBA7984
	buffer_load_dwordx4 v32, s[20:23], 0 offen offset:512 lds  // 000000005E34: E05D1200 80050020
	s_add_i32 m0, m0, 0x3c0                                    // 000000005E3C: 817CFF7C 000003C0
	v_mfma_f32_16x16x32_bf16 v[46:49], a[136:139], a[64:67], v[46:49]// 000000005E44: D3B5002E 1CBA8188
	v_mul_f32_e32 v78, v16, v78                                // 000000005E4C: 0A9C9D10
	v_mul_f32_e32 v79, v16, v79                                // 000000005E50: 0A9E9F10
	ds_read_b64_tr_b16 a[192:193], v12 offset:6144             // 000000005E54: DBC61800 C000000C
	ds_read_b64_tr_b16 a[194:195], v12 offset:6400             // 000000005E5C: DBC61900 C200000C
	ds_read_b64_tr_b16 a[196:197], v13 offset:6144             // 000000005E64: DBC61800 C400000D
	ds_read_b64_tr_b16 a[198:199], v13 offset:6400             // 000000005E6C: DBC61900 C600000D
	ds_read_b64_tr_b16 a[200:201], v12 offset:7168             // 000000005E74: DBC61C00 C800000C
	ds_read_b64_tr_b16 a[202:203], v12 offset:7424             // 000000005E7C: DBC61D00 CA00000C
	ds_read_b64_tr_b16 a[204:205], v13 offset:7168             // 000000005E84: DBC61C00 CC00000D
	ds_read_b64_tr_b16 a[206:207], v13 offset:7424             // 000000005E8C: DBC61D00 CE00000D
	v_mov_b32_e32 v30, v16                                     // 000000005E94: 7E3C0310
	v_mov_b32_e32 v31, v16                                     // 000000005E98: 7E3E0310
	v_pk_mul_f32 v[80:81], v[30:31], v[80:81]                  // 000000005E9C: D3B14050 1802A11E
	v_pk_mul_f32 v[82:83], v[30:31], v[82:83]                  // 000000005EA4: D3B14052 1802A51E
	v_pk_mul_f32 v[84:85], v[30:31], v[84:85]                  // 000000005EAC: D3B14054 1802A91E
	v_pk_mul_f32 v[86:87], v[30:31], v[86:87]                  // 000000005EB4: D3B14056 1802AD1E
	v_pk_mul_f32 v[88:89], v[30:31], v[88:89]                  // 000000005EBC: D3B14058 1802B11E
	v_pk_mul_f32 v[90:91], v[30:31], v[90:91]                  // 000000005EC4: D3B1405A 1802B51E
	v_pk_mul_f32 v[92:93], v[30:31], v[92:93]                  // 000000005ECC: D3B1405C 1802B91E
	v_pk_mul_f32 v[94:95], v[30:31], v[94:95]                  // 000000005ED4: D3B1405E 1802BD1E
	v_pk_mul_f32 v[96:97], v[30:31], v[96:97]                  // 000000005EDC: D3B14060 1802C11E
	v_pk_mul_f32 v[98:99], v[30:31], v[98:99]                  // 000000005EE4: D3B14062 1802C51E
	v_pk_mul_f32 v[100:101], v[30:31], v[100:101]              // 000000005EEC: D3B14064 1802C91E
	v_pk_mul_f32 v[102:103], v[30:31], v[102:103]              // 000000005EF4: D3B14066 1802CD1E
	v_pk_mul_f32 v[104:105], v[30:31], v[104:105]              // 000000005EFC: D3B14068 1802D11E
	v_pk_mul_f32 v[106:107], v[30:31], v[106:107]              // 000000005F04: D3B1406A 1802D51E
	v_pk_mul_f32 v[108:109], v[30:31], v[108:109]              // 000000005F0C: D3B1406C 1802D91E
	v_pk_mul_f32 v[110:111], v[30:31], v[110:111]              // 000000005F14: D3B1406E 1802DD1E
	v_pk_mul_f32 v[112:113], v[30:31], v[112:113]              // 000000005F1C: D3B14070 1802E11E
	v_pk_mul_f32 v[114:115], v[30:31], v[114:115]              // 000000005F24: D3B14072 1802E51E
	v_pk_mul_f32 v[116:117], v[30:31], v[116:117]              // 000000005F2C: D3B14074 1802E91E
	v_pk_mul_f32 v[118:119], v[30:31], v[118:119]              // 000000005F34: D3B14076 1802ED1E
	v_pk_mul_f32 v[120:121], v[30:31], v[120:121]              // 000000005F3C: D3B14078 1802F11E
	v_pk_mul_f32 v[122:123], v[30:31], v[122:123]              // 000000005F44: D3B1407A 1802F51E
	v_pk_mul_f32 v[124:125], v[30:31], v[124:125]              // 000000005F4C: D3B1407C 1802F91E
	v_pk_mul_f32 v[126:127], v[30:31], v[126:127]              // 000000005F54: D3B1407E 1802FD1E
	v_pk_mul_f32 v[128:129], v[30:31], v[128:129]              // 000000005F5C: D3B14080 1803011E
	v_pk_mul_f32 v[130:131], v[30:31], v[130:131]              // 000000005F64: D3B14082 1803051E
	v_pk_mul_f32 v[132:133], v[30:31], v[132:133]              // 000000005F6C: D3B14084 1803091E
	v_pk_mul_f32 v[134:135], v[30:31], v[134:135]              // 000000005F74: D3B14086 18030D1E
	v_pk_mul_f32 v[136:137], v[30:31], v[136:137]              // 000000005F7C: D3B14088 1803111E
	v_pk_mul_f32 v[138:139], v[30:31], v[138:139]              // 000000005F84: D3B1408A 1803151E
	v_pk_mul_f32 v[140:141], v[30:31], v[140:141]              // 000000005F8C: D3B1408C 1803191E
	v_pk_mul_f32 v[142:143], v[30:31], v[142:143]              // 000000005F94: D3B1408E 18031D1E
	v_pk_mul_f32 v[144:145], v[30:31], v[144:145]              // 000000005F9C: D3B14090 1803211E
	v_pk_mul_f32 v[146:147], v[30:31], v[146:147]              // 000000005FA4: D3B14092 1803251E
	v_pk_mul_f32 v[148:149], v[30:31], v[148:149]              // 000000005FAC: D3B14094 1803291E
	v_pk_mul_f32 v[150:151], v[30:31], v[150:151]              // 000000005FB4: D3B14096 18032D1E
	v_pk_mul_f32 v[152:153], v[30:31], v[152:153]              // 000000005FBC: D3B14098 1803311E
	v_pk_mul_f32 v[154:155], v[30:31], v[154:155]              // 000000005FC4: D3B1409A 1803351E
	v_pk_mul_f32 v[156:157], v[30:31], v[156:157]              // 000000005FCC: D3B1409C 1803391E
	v_pk_mul_f32 v[158:159], v[30:31], v[158:159]              // 000000005FD4: D3B1409E 18033D1E
	v_pk_mul_f32 v[160:161], v[30:31], v[160:161]              // 000000005FDC: D3B140A0 1803411E
	v_pk_mul_f32 v[162:163], v[30:31], v[162:163]              // 000000005FE4: D3B140A2 1803451E
	v_pk_mul_f32 v[164:165], v[30:31], v[164:165]              // 000000005FEC: D3B140A4 1803491E
	v_pk_mul_f32 v[166:167], v[30:31], v[166:167]              // 000000005FF4: D3B140A6 18034D1E
	v_pk_mul_f32 v[168:169], v[30:31], v[168:169]              // 000000005FFC: D3B140A8 1803511E
	v_pk_mul_f32 v[170:171], v[30:31], v[170:171]              // 000000006004: D3B140AA 1803551E
	v_pk_mul_f32 v[172:173], v[30:31], v[172:173]              // 00000000600C: D3B140AC 1803591E
	v_pk_mul_f32 v[174:175], v[30:31], v[174:175]              // 000000006014: D3B140AE 18035D1E
	v_pk_mul_f32 v[176:177], v[30:31], v[176:177]              // 00000000601C: D3B140B0 1803611E
	v_mfma_f32_16x16x32_bf16 v[46:49], a[140:143], a[68:71], v[46:49]// 000000006024: D3B5002E 1CBA898C
	s_addk_i32 s70, 0x1                                        // 00000000602C: B7460001
	s_cmp_lt_i32 s70, s71                                      // 000000006030: BF044746
	s_cbranch_scc0 label_3B3C                                  // 000000006034: BF840001
	s_branch label_1578                                        // 000000006038: BF82F68F

000000000000603c <label_3B3C>:
	s_nop 0                                                    // 00000000603C: BF800000
	s_nop 0                                                    // 000000006040: BF800000
	s_branch label_6414                                        // 000000006044: BF820A33

0000000000006048 <label_3B48>:
	s_waitcnt lgkmcnt(0)                                       // 000000006048: BF8CC07F
	v_mul_u32_u24_e64 v32, v22, s68                            // 00000000604C: D1080020 00008916
	v_add_u32_e32 v32, v32, v1                                 // 000000006054: 68400320
	v_mfma_f32_16x16x32_bf16 v[50:53], a[144:147], v[34:37], v[50:53]// 000000006058: D3B50032 0CCA4590
	v_mov_b32_e32 v29, v42                                     // 000000006060: 7E3A032A
	v_max3_f32 v29, v42, v43, v29                              // 000000006064: D1D3001D 0476572A
	v_mfma_f32_16x16x32_bf16 v[54:57], a[148:151], v[34:37], v[54:57]// 00000000606C: D3B50036 0CDA4594
	ds_read_b64_tr_b16 a[144:145], v12 offset:8192             // 000000006074: DBC62000 9000000C
	ds_read_b64_tr_b16 a[146:147], v12 offset:8448             // 00000000607C: DBC62100 9200000C
	v_mfma_f32_16x16x32_bf16 v[58:61], a[152:155], v[34:37], v[58:61]// 000000006084: D3B5003A 0CEA4598
	v_max3_f32 v29, v44, v45, v29                              // 00000000608C: D1D3001D 04765B2C
	v_max3_f32 v29, v46, v47, v29                              // 000000006094: D1D3001D 04765F2E
	v_mfma_f32_16x16x32_bf16 v[62:65], a[156:159], v[34:37], v[62:65]// 00000000609C: D3B5003E 0CFA459C
	ds_read_b64_tr_b16 a[148:149], v13 offset:8192             // 0000000060A4: DBC62000 9400000D
	ds_read_b64_tr_b16 a[150:151], v13 offset:8448             // 0000000060AC: DBC62100 9600000D
	v_mfma_f32_16x16x32_bf16 v[66:69], a[160:163], v[34:37], v[66:69]// 0000000060B4: D3B50042 0D0A45A0
	v_max3_f32 v29, v48, v49, v29                              // 0000000060BC: D1D3001D 04766330
	v_mov_b32_e32 v28, v29                                     // 0000000060C4: 7E38031D
	v_mfma_f32_16x16x32_bf16 v[70:73], a[164:167], v[34:37], v[70:73]// 0000000060C8: D3B50046 0D1A45A4
	ds_read_b64_tr_b16 a[152:153], v12 offset:9216             // 0000000060D0: DBC62400 9800000C
	ds_read_b64_tr_b16 a[154:155], v12 offset:9472             // 0000000060D8: DBC62500 9A00000C
	v_mfma_f32_16x16x32_bf16 v[74:77], a[168:171], v[34:37], v[74:77]// 0000000060E0: D3B5004A 0D2A45A8
	v_mov_b32_e32 v29, v29                                     // 0000000060E8: 7E3A031D
	s_nop 1                                                    // 0000000060EC: BF800001
	v_mfma_f32_16x16x32_bf16 v[78:81], a[172:175], v[34:37], v[78:81]// 0000000060F0: D3B5004E 0D3A45AC
	ds_read_b64_tr_b16 a[156:157], v13 offset:9216             // 0000000060F8: DBC62400 9C00000D
	ds_read_b64_tr_b16 a[158:159], v13 offset:9472             // 000000006100: DBC62500 9E00000D
	v_mfma_f32_16x16x32_bf16 v[82:85], a[176:179], v[34:37], v[82:85]// 000000006108: D3B50052 0D4A45B0
	v_permlane16_swap_b32_e32 v28, v29                         // 000000006110: 7E38B31D
	v_mfma_f32_16x16x32_bf16 v[86:89], a[180:183], v[34:37], v[86:89]// 000000006114: D3B50056 0D5A45B4
	ds_read_b64_tr_b16 a[160:161], v12 offset:10240            // 00000000611C: DBC62800 A000000C
	ds_read_b64_tr_b16 a[162:163], v12 offset:10496            // 000000006124: DBC62900 A200000C
	v_mfma_f32_16x16x32_bf16 v[90:93], a[184:187], v[34:37], v[90:93]// 00000000612C: D3B5005A 0D6A45B8
	v_mov_b32_e32 v31, v28                                     // 000000006134: 7E3E031C
	v_mov_b32_e32 v30, v29                                     // 000000006138: 7E3C031D
	v_mfma_f32_16x16x32_bf16 v[94:97], a[188:191], v[34:37], v[94:97]// 00000000613C: D3B5005E 0D7A45BC
	ds_read_b64_tr_b16 a[164:165], v13 offset:10240            // 000000006144: DBC62800 A400000D
	ds_read_b64_tr_b16 a[166:167], v13 offset:10496            // 00000000614C: DBC62900 A600000D
	v_mfma_f32_16x16x32_bf16 v[98:101], a[192:195], v[34:37], v[98:101]// 000000006154: D3B50062 0D8A45C0
	s_nop 1                                                    // 00000000615C: BF800001
	v_permlane32_swap_b32_e32 v28, v29                         // 000000006160: 7E38B51D
	v_mfma_f32_16x16x32_bf16 v[102:105], a[196:199], v[34:37], v[102:105]// 000000006164: D3B50066 0D9A45C4
	ds_read_b64_tr_b16 a[168:169], v12 offset:11264            // 00000000616C: DBC62C00 A800000C
	ds_read_b64_tr_b16 a[170:171], v12 offset:11520            // 000000006174: DBC62D00 AA00000C
	v_mfma_f32_16x16x32_bf16 v[106:109], a[200:203], v[34:37], v[106:109]// 00000000617C: D3B5006A 0DAA45C8
	v_permlane32_swap_b32_e32 v30, v31                         // 000000006184: 7E3CB51F
	v_mfma_f32_16x16x32_bf16 v[110:113], a[204:207], v[34:37], v[110:113]// 000000006188: D3B5006E 0DBA45CC
	ds_read_b64_tr_b16 a[172:173], v13 offset:11264            // 000000006190: DBC62C00 AC00000D
	ds_read_b64_tr_b16 a[174:175], v13 offset:11520            // 000000006198: DBC62D00 AE00000D
	ds_read_b64_tr_b16 a[176:177], v12 offset:12288            // 0000000061A0: DBC63000 B000000C
	ds_read_b64_tr_b16 a[178:179], v12 offset:12544            // 0000000061A8: DBC63100 B200000C
	ds_read_b64_tr_b16 a[180:181], v13 offset:12288            // 0000000061B0: DBC63000 B400000D
	ds_read_b64_tr_b16 a[182:183], v13 offset:12544            // 0000000061B8: DBC63100 B600000D
	ds_read_b64_tr_b16 a[184:185], v12 offset:13312            // 0000000061C0: DBC63400 B800000C
	ds_read_b64_tr_b16 a[186:187], v12 offset:13568            // 0000000061C8: DBC63500 BA00000C
	ds_read_b64_tr_b16 a[188:189], v13 offset:13312            // 0000000061D0: DBC63400 BC00000D
	ds_read_b64_tr_b16 a[190:191], v13 offset:13568            // 0000000061D8: DBC63500 BE00000D
	s_waitcnt lgkmcnt(0)                                       // 0000000061E0: BF8CC07F
	v_mfma_f32_16x16x32_bf16 v[114:117], a[144:147], v[34:37], v[114:117]// 0000000061E4: D3B50072 0DCA4590
	ds_read_b64_tr_b16 a[192:193], v12 offset:14336            // 0000000061EC: DBC63800 C000000C
	ds_read_b64_tr_b16 a[194:195], v12 offset:14592            // 0000000061F4: DBC63900 C200000C
	v_mfma_f32_16x16x32_bf16 v[118:121], a[148:151], v[34:37], v[118:121]// 0000000061FC: D3B50076 0DDA4594
	s_waitcnt vmcnt(10)                                        // 000000006204: BF8C0F7A
	s_barrier                                                  // 000000006208: BF8A0000
	ds_read_b128 a[72:75], v18                                 // 00000000620C: DBFE0000 48000012
	ds_read_b128 a[76:79], v18 offset:1024                     // 000000006214: DBFE0400 4C000012
	v_mfma_f32_16x16x32_bf16 v[122:125], a[152:155], v[34:37], v[122:125]// 00000000621C: D3B5007A 0DEA4598
	ds_read_b64_tr_b16 a[196:197], v13 offset:14336            // 000000006224: DBC63800 C400000D
	ds_read_b64_tr_b16 a[198:199], v13 offset:14592            // 00000000622C: DBC63900 C600000D
	v_mfma_f32_16x16x32_bf16 v[126:129], a[156:159], v[34:37], v[126:129]// 000000006234: D3B5007E 0DFA459C
	ds_read_b128 a[80:83], v18 offset:2048                     // 00000000623C: DBFE0800 50000012
	ds_read_b128 a[84:87], v18 offset:3072                     // 000000006244: DBFE0C00 54000012
	v_mfma_f32_16x16x32_bf16 v[130:133], a[160:163], v[34:37], v[130:133]// 00000000624C: D3B50082 0E0A45A0
	ds_read_b64_tr_b16 a[200:201], v12 offset:15360            // 000000006254: DBC63C00 C800000C
	ds_read_b64_tr_b16 a[202:203], v12 offset:15616            // 00000000625C: DBC63D00 CA00000C
	v_mfma_f32_16x16x32_bf16 v[134:137], a[164:167], v[34:37], v[134:137]// 000000006264: D3B50086 0E1A45A4
	ds_read_b128 a[88:91], v18 offset:4096                     // 00000000626C: DBFE1000 58000012
	ds_read_b128 a[92:95], v18 offset:5120                     // 000000006274: DBFE1400 5C000012
	v_mfma_f32_16x16x32_bf16 v[138:141], a[168:171], v[34:37], v[138:141]// 00000000627C: D3B5008A 0E2A45A8
	ds_read_b64_tr_b16 a[204:205], v13 offset:15360            // 000000006284: DBC63C00 CC00000D
	ds_read_b64_tr_b16 a[206:207], v13 offset:15616            // 00000000628C: DBC63D00 CE00000D
	v_mfma_f32_16x16x32_bf16 v[142:145], a[172:175], v[34:37], v[142:145]// 000000006294: D3B5008E 0E3A45AC
	ds_read_b128 a[96:99], v18 offset:6144                     // 00000000629C: DBFE1800 60000012
	ds_read_b128 a[100:103], v18 offset:7168                   // 0000000062A4: DBFE1C00 64000012
	v_mfma_f32_16x16x32_bf16 v[146:149], a[176:179], v[34:37], v[146:149]// 0000000062AC: D3B50092 0E4A45B0
	v_max3_f32 v29, v28, v29, v29                              // 0000000062B4: D1D3001D 04763B1C
	v_max3_f32 v29, v30, v31, v29                              // 0000000062BC: D1D3001D 04763F1E
	v_mfma_f32_16x16x32_bf16 v[150:153], a[180:183], v[34:37], v[150:153]// 0000000062C4: D3B50096 0E5A45B4
	ds_read_b128 a[104:107], v18 offset:8192                   // 0000000062CC: DBFE2000 68000012
	ds_read_b128 a[108:111], v18 offset:9216                   // 0000000062D4: DBFE2400 6C000012
	v_mfma_f32_16x16x32_bf16 v[154:157], a[184:187], v[34:37], v[154:157]// 0000000062DC: D3B5009A 0E6A45B8
	v_mov_b32_e32 v28, 0xff800000                              // 0000000062E4: 7E3802FF FF800000
	v_cmp_eq_u32_e64 s[36:37], v28, v2                         // 0000000062EC: D0CA0024 0002051C
	v_mfma_f32_16x16x32_bf16 v[158:161], a[188:191], v[34:37], v[158:161]// 0000000062F4: D3B5009E 0E7A45BC
	ds_read_b128 a[112:115], v18 offset:10240                  // 0000000062FC: DBFE2800 70000012
	ds_read_b128 a[116:119], v18 offset:11264                  // 000000006304: DBFE2C00 74000012
	v_mfma_f32_16x16x32_bf16 v[162:165], a[192:195], v[34:37], v[162:165]// 00000000630C: D3B500A2 0E8A45C0
	v_max_f32_e32 v29, v29, v2                                 // 000000006314: 163A051D
	v_sub_f32_e32 v16, v2, v29                                 // 000000006318: 04203B02
	v_mfma_f32_16x16x32_bf16 v[166:169], a[196:199], v[34:37], v[166:169]// 00000000631C: D3B500A6 0E9A45C4
	ds_read_b128 a[120:123], v18 offset:12288                  // 000000006324: DBFE3000 78000012
	ds_read_b128 a[124:127], v18 offset:13312                  // 00000000632C: DBFE3400 7C000012
	v_mfma_f32_16x16x32_bf16 v[170:173], a[200:203], v[34:37], v[170:173]// 000000006334: D3B500AA 0EAA45C8
	v_cndmask_b32_e64 v16, v16, 0, s[36:37]                    // 00000000633C: D1000010 00910110
	v_mov_b32_e32 v2, v29                                      // 000000006344: 7E04031D
	v_mfma_f32_16x16x32_bf16 v[174:177], a[204:207], v[34:37], v[174:177]// 000000006348: D3B500AE 0EBA45CC
	ds_read_b128 a[128:131], v18 offset:14336                  // 000000006350: DBFE3800 80000012
	ds_read_b128 a[132:135], v18 offset:15360                  // 000000006358: DBFE3C00 84000012
	ds_read_b128 a[136:139], v18 offset:16384                  // 000000006360: DBFE4000 88000012
	ds_read_b128 a[140:143], v18 offset:17408                  // 000000006368: DBFE4400 8C000012
	s_waitcnt lgkmcnt(0)                                       // 000000006370: BF8CC07F
	v_mfma_f32_16x16x32_bf16 v[34:37], a[72:75], a[0:3], 0     // 000000006374: D3B50022 1A020148
	buffer_load_dword v24, v26, s[24:27], 0 offen              // 00000000637C: E0501000 8006181A
	v_mul_f32_e32 v29, s5, v29                                 // 000000006384: 0A3A3A05
	s_mov_b32 s56, 0x14000                                     // 000000006388: BEB800FF 00014000
	s_mul_i32 s57, s7, 0x2400                                  // 000000006390: 9239FF07 00002400
	s_add_u32 m0, s56, s57                                     // 000000006398: 807C3938
	buffer_load_dwordx4 v32, s[20:23], 0 offen lds             // 00000000639C: E05D1000 80050020
	s_add_i32 m0, m0, 0x3c0                                    // 0000000063A4: 817CFF7C 000003C0
	v_mfma_f32_16x16x32_bf16 v[34:37], a[76:79], a[4:7], v[34:37]// 0000000063AC: D3B50022 1C8A094C
	buffer_load_dwordx4 v32, s[20:23], 0 offen offset:64 lds   // 0000000063B4: E05D1040 80050020
	s_add_i32 m0, m0, 0x3c0                                    // 0000000063BC: 817CFF7C 000003C0
	v_mfma_f32_16x16x32_bf16 v[34:37], a[80:83], a[8:11], v[34:37]// 0000000063C4: D3B50022 1C8A1150
	v_mul_f32_e32 v16, s5, v16                                 // 0000000063CC: 0A202005
	v_exp_f32_e32 v16, v16                                     // 0000000063D0: 7E204110
	v_mfma_f32_16x16x32_bf16 v[34:37], a[84:87], a[12:15], v[34:37]// 0000000063D4: D3B50022 1C8A1954
	v_add_u32_e32 v26, s73, v26                                // 0000000063DC: 68343449
	ds_read_b128 a[72:75], v18 offset:18432                    // 0000000063E0: DBFE4800 48000012
	ds_read_b128 a[76:79], v18 offset:19456                    // 0000000063E8: DBFE4C00 4C000012
	v_fma_f32 v42, v42, s5, -v29                               // 0000000063F0: D1CB002A 84740B2A
	v_mfma_f32_16x16x32_bf16 v[34:37], a[88:91], a[16:19], v[34:37]// 0000000063F8: D3B50022 1C8A2158
	ds_read_b128 a[80:83], v18 offset:20480                    // 000000006400: DBFE5000 50000012
	ds_read_b128 a[84:87], v18 offset:21504                    // 000000006408: DBFE5400 54000012
	v_fma_f32 v43, v43, s5, -v29                               // 000000006410: D1CB002B 84740B2B
	v_mfma_f32_16x16x32_bf16 v[34:37], a[92:95], a[20:23], v[34:37]// 000000006418: D3B50022 1C8A295C
	buffer_load_dwordx4 v32, s[20:23], 0 offen offset:128 lds  // 000000006420: E05D1080 80050020
	s_add_i32 m0, m0, 0x3c0                                    // 000000006428: 817CFF7C 000003C0
	v_mfma_f32_16x16x32_bf16 v[34:37], a[96:99], a[24:27], v[34:37]// 000000006430: D3B50022 1C8A3160
	v_fma_f32 v44, v44, s5, -v29                               // 000000006438: D1CB002C 84740B2C
	v_fma_f32 v45, v45, s5, -v29                               // 000000006440: D1CB002D 84740B2D
	v_mfma_f32_16x16x32_bf16 v[34:37], a[100:103], a[28:31], v[34:37]// 000000006448: D3B50022 1C8A3964
	ds_read_b128 a[88:91], v18 offset:22528                    // 000000006450: DBFE5800 58000012
	ds_read_b128 a[92:95], v18 offset:23552                    // 000000006458: DBFE5C00 5C000012
	v_fma_f32 v46, v46, s5, -v29                               // 000000006460: D1CB002E 84740B2E
	v_mfma_f32_16x16x32_bf16 v[34:37], a[104:107], a[32:35], v[34:37]// 000000006468: D3B50022 1C8A4168
	ds_read_b128 a[96:99], v18 offset:24576                    // 000000006470: DBFE6000 60000012
	ds_read_b128 a[100:103], v18 offset:25600                  // 000000006478: DBFE6400 64000012
	v_fma_f32 v47, v47, s5, -v29                               // 000000006480: D1CB002F 84740B2F
	v_mfma_f32_16x16x32_bf16 v[34:37], a[108:111], a[36:39], v[34:37]// 000000006488: D3B50022 1C8A496C
	buffer_load_dwordx4 v32, s[20:23], 0 offen offset:192 lds  // 000000006490: E05D10C0 80050020
	s_add_i32 m0, m0, 0x3c0                                    // 000000006498: 817CFF7C 000003C0
	v_mfma_f32_16x16x32_bf16 v[34:37], a[112:115], a[40:43], v[34:37]// 0000000064A0: D3B50022 1C8A5170
	v_fma_f32 v48, v48, s5, -v29                               // 0000000064A8: D1CB0030 84740B30
	v_fma_f32 v49, v49, s5, -v29                               // 0000000064B0: D1CB0031 84740B31
	v_mfma_f32_16x16x32_bf16 v[34:37], a[116:119], a[44:47], v[34:37]// 0000000064B8: D3B50022 1C8A5974
	v_exp_f32_e32 v42, v42                                     // 0000000064C0: 7E54412A
	v_mfma_f32_16x16x32_bf16 v[34:37], a[120:123], a[48:51], v[34:37]// 0000000064C4: D3B50022 1C8A6178
	ds_read_b128 a[104:107], v18 offset:26624                  // 0000000064CC: DBFE6800 68000012
	ds_read_b128 a[108:111], v18 offset:27648                  // 0000000064D4: DBFE6C00 6C000012
	v_exp_f32_e32 v43, v43                                     // 0000000064DC: 7E56412B
	v_mfma_f32_16x16x32_bf16 v[34:37], a[124:127], a[52:55], v[34:37]// 0000000064E0: D3B50022 1C8A697C
	buffer_load_dwordx4 v32, s[20:23], 0 offen offset:256 lds  // 0000000064E8: E05D1100 80050020
	s_add_i32 m0, m0, 0x3c0                                    // 0000000064F0: 817CFF7C 000003C0
	v_mfma_f32_16x16x32_bf16 v[34:37], a[128:131], a[56:59], v[34:37]// 0000000064F8: D3B50022 1C8A7180
	v_exp_f32_e32 v44, v44                                     // 000000006500: 7E58412C
	v_mfma_f32_16x16x32_bf16 v[34:37], a[132:135], a[60:63], v[34:37]// 000000006504: D3B50022 1C8A7984
	ds_read_b128 a[112:115], v18 offset:28672                  // 00000000650C: DBFE7000 70000012
	ds_read_b128 a[116:119], v18 offset:29696                  // 000000006514: DBFE7400 74000012
	v_exp_f32_e32 v45, v45                                     // 00000000651C: 7E5A412D
	v_mfma_f32_16x16x32_bf16 v[34:37], a[136:139], a[64:67], v[34:37]// 000000006520: D3B50022 1C8A8188
	ds_read_b128 a[120:123], v18 offset:30720                  // 000000006528: DBFE7800 78000012
	ds_read_b128 a[124:127], v18 offset:31744                  // 000000006530: DBFE7C00 7C000012
	v_exp_f32_e32 v46, v46                                     // 000000006538: 7E5C412E
	v_mfma_f32_16x16x32_bf16 v[34:37], a[140:143], a[68:71], v[34:37]// 00000000653C: D3B50022 1C8A898C
	ds_read_b128 a[128:131], v18 offset:32768                  // 000000006544: DBFE8000 80000012
	ds_read_b128 a[132:135], v18 offset:33792                  // 00000000654C: DBFE8400 84000012
	v_exp_f32_e32 v47, v47                                     // 000000006554: 7E5E412F
	ds_read_b128 a[136:139], v18 offset:34816                  // 000000006558: DBFE8800 88000012
	ds_read_b128 a[140:143], v18 offset:35840                  // 000000006560: DBFE8C00 8C000012
	v_exp_f32_e32 v48, v48                                     // 000000006568: 7E604130
	v_exp_f32_e32 v49, v49                                     // 00000000656C: 7E624131
	v_mul_f32_e32 v4, v16, v4                                  // 000000006570: 0A080910
	v_mov_b32_e32 v28, v42                                     // 000000006574: 7E38032A
	v_add_f32_e32 v28, v43, v28                                // 000000006578: 0238392B
	v_add_f32_e32 v28, v44, v28                                // 00000000657C: 0238392C
	v_add_f32_e32 v28, v45, v28                                // 000000006580: 0238392D
	v_add_f32_e32 v28, v46, v28                                // 000000006584: 0238392E
	v_add_f32_e32 v28, v47, v28                                // 000000006588: 0238392F
	v_add_f32_e32 v28, v48, v28                                // 00000000658C: 02383930
	v_add_f32_e32 v28, v49, v28                                // 000000006590: 02383931
	v_add_f32_e32 v4, v28, v4                                  // 000000006594: 0208091C
	v_cvt_pk_bf16_f32 v42, v42, v43                            // 000000006598: D268002A 0002572A
	v_cvt_pk_bf16_f32 v43, v44, v45                            // 0000000065A0: D268002B 00025B2C
	v_cvt_pk_bf16_f32 v44, v46, v47                            // 0000000065A8: D268002C 00025F2E
	v_cvt_pk_bf16_f32 v45, v48, v49                            // 0000000065B0: D268002D 00026330
	s_nop 0                                                    // 0000000065B8: BF800000
	v_permlane32_swap_b32_e32 v42, v44                         // 0000000065BC: 7E54B52C
	v_permlane32_swap_b32_e32 v43, v45                         // 0000000065C0: 7E56B52D
	s_nop 0                                                    // 0000000065C4: BF800000
	v_permlane16_swap_b32_e32 v42, v44                         // 0000000065C8: 7E54B32C
	v_permlane16_swap_b32_e32 v43, v45                         // 0000000065CC: 7E56B32D
	s_waitcnt lgkmcnt(0)                                       // 0000000065D0: BF8CC07F
	v_mfma_f32_16x16x32_bf16 v[38:41], a[72:75], a[0:3], 0     // 0000000065D4: D3B50026 1A020148
	v_mul_f32_e32 v50, v16, v50                                // 0000000065DC: 0A646510
	v_mul_f32_e32 v51, v16, v51                                // 0000000065E0: 0A666710
	ds_read_b64_tr_b16 a[144:145], v14                         // 0000000065E4: DBC60000 9000000E
	ds_read_b64_tr_b16 a[146:147], v14 offset:256              // 0000000065EC: DBC60100 9200000E
	v_mfma_f32_16x16x32_bf16 v[38:41], a[76:79], a[4:7], v[38:41]// 0000000065F4: D3B50026 1C9A094C
	buffer_load_dwordx4 v32, s[20:23], 0 offen offset:320 lds  // 0000000065FC: E05D1140 80050020
	s_add_i32 m0, m0, 0x3c0                                    // 000000006604: 817CFF7C 000003C0
	v_mul_f32_e32 v52, v16, v52                                // 00000000660C: 0A686910
	v_mul_f32_e32 v53, v16, v53                                // 000000006610: 0A6A6B10
	v_mfma_f32_16x16x32_bf16 v[38:41], a[80:83], a[8:11], v[38:41]// 000000006614: D3B50026 1C9A1150
	v_mul_f32_e32 v54, v16, v54                                // 00000000661C: 0A6C6D10
	v_mul_f32_e32 v55, v16, v55                                // 000000006620: 0A6E6F10
	ds_read_b64_tr_b16 a[148:149], v15                         // 000000006624: DBC60000 9400000F
	ds_read_b64_tr_b16 a[150:151], v15 offset:256              // 00000000662C: DBC60100 9600000F
	v_mfma_f32_16x16x32_bf16 v[38:41], a[84:87], a[12:15], v[38:41]// 000000006634: D3B50026 1C9A1954
	v_mul_f32_e32 v56, v16, v56                                // 00000000663C: 0A707110
	v_mul_f32_e32 v57, v16, v57                                // 000000006640: 0A727310
	ds_read_b64_tr_b16 a[152:153], v14 offset:1024             // 000000006644: DBC60400 9800000E
	ds_read_b64_tr_b16 a[154:155], v14 offset:1280             // 00000000664C: DBC60500 9A00000E
	v_mfma_f32_16x16x32_bf16 v[38:41], a[88:91], a[16:19], v[38:41]// 000000006654: D3B50026 1C9A2158
	v_mul_f32_e32 v58, v16, v58                                // 00000000665C: 0A747510
	v_mul_f32_e32 v59, v16, v59                                // 000000006660: 0A767710
	ds_read_b64_tr_b16 a[156:157], v15 offset:1024             // 000000006664: DBC60400 9C00000F
	ds_read_b64_tr_b16 a[158:159], v15 offset:1280             // 00000000666C: DBC60500 9E00000F
	v_mfma_f32_16x16x32_bf16 v[38:41], a[92:95], a[20:23], v[38:41]// 000000006674: D3B50026 1C9A295C
	v_mul_f32_e32 v60, v16, v60                                // 00000000667C: 0A787910
	v_mul_f32_e32 v61, v16, v61                                // 000000006680: 0A7A7B10
	ds_read_b64_tr_b16 a[160:161], v14 offset:2048             // 000000006684: DBC60800 A000000E
	ds_read_b64_tr_b16 a[162:163], v14 offset:2304             // 00000000668C: DBC60900 A200000E
	v_mfma_f32_16x16x32_bf16 v[38:41], a[96:99], a[24:27], v[38:41]// 000000006694: D3B50026 1C9A3160
	v_mul_f32_e32 v62, v16, v62                                // 00000000669C: 0A7C7D10
	v_mul_f32_e32 v63, v16, v63                                // 0000000066A0: 0A7E7F10
	ds_read_b64_tr_b16 a[164:165], v15 offset:2048             // 0000000066A4: DBC60800 A400000F
	ds_read_b64_tr_b16 a[166:167], v15 offset:2304             // 0000000066AC: DBC60900 A600000F
	v_mfma_f32_16x16x32_bf16 v[38:41], a[100:103], a[28:31], v[38:41]// 0000000066B4: D3B50026 1C9A3964
	buffer_load_dwordx4 v32, s[20:23], 0 offen offset:384 lds  // 0000000066BC: E05D1180 80050020
	s_add_i32 m0, m0, 0x3c0                                    // 0000000066C4: 817CFF7C 000003C0
	v_mfma_f32_16x16x32_bf16 v[38:41], a[104:107], a[32:35], v[38:41]// 0000000066CC: D3B50026 1C9A4168
	v_mul_f32_e32 v64, v16, v64                                // 0000000066D4: 0A808110
	v_mul_f32_e32 v65, v16, v65                                // 0000000066D8: 0A828310
	ds_read_b64_tr_b16 a[168:169], v14 offset:3072             // 0000000066DC: DBC60C00 A800000E
	ds_read_b64_tr_b16 a[170:171], v14 offset:3328             // 0000000066E4: DBC60D00 AA00000E
	v_mfma_f32_16x16x32_bf16 v[38:41], a[108:111], a[36:39], v[38:41]// 0000000066EC: D3B50026 1C9A496C
	v_mul_f32_e32 v66, v16, v66                                // 0000000066F4: 0A848510
	v_mul_f32_e32 v67, v16, v67                                // 0000000066F8: 0A868710
	ds_read_b64_tr_b16 a[172:173], v15 offset:3072             // 0000000066FC: DBC60C00 AC00000F
	ds_read_b64_tr_b16 a[174:175], v15 offset:3328             // 000000006704: DBC60D00 AE00000F
	v_mfma_f32_16x16x32_bf16 v[38:41], a[112:115], a[40:43], v[38:41]// 00000000670C: D3B50026 1C9A5170
	v_mul_f32_e32 v68, v16, v68                                // 000000006714: 0A888910
	v_mul_f32_e32 v69, v16, v69                                // 000000006718: 0A8A8B10
	ds_read_b64_tr_b16 a[176:177], v14 offset:4096             // 00000000671C: DBC61000 B000000E
	ds_read_b64_tr_b16 a[178:179], v14 offset:4352             // 000000006724: DBC61100 B200000E
	v_mfma_f32_16x16x32_bf16 v[38:41], a[116:119], a[44:47], v[38:41]// 00000000672C: D3B50026 1C9A5974
	buffer_load_dwordx4 v32, s[20:23], 0 offen offset:448 lds  // 000000006734: E05D11C0 80050020
	s_add_i32 m0, m0, 0x3c0                                    // 00000000673C: 817CFF7C 000003C0
	v_mul_f32_e32 v70, v16, v70                                // 000000006744: 0A8C8D10
	v_mul_f32_e32 v71, v16, v71                                // 000000006748: 0A8E8F10
	v_mfma_f32_16x16x32_bf16 v[38:41], a[120:123], a[48:51], v[38:41]// 00000000674C: D3B50026 1C9A6178
	v_mul_f32_e32 v72, v16, v72                                // 000000006754: 0A909110
	v_mul_f32_e32 v73, v16, v73                                // 000000006758: 0A929310
	ds_read_b64_tr_b16 a[180:181], v15 offset:4096             // 00000000675C: DBC61000 B400000F
	ds_read_b64_tr_b16 a[182:183], v15 offset:4352             // 000000006764: DBC61100 B600000F
	v_mfma_f32_16x16x32_bf16 v[38:41], a[124:127], a[52:55], v[38:41]// 00000000676C: D3B50026 1C9A697C
	v_mul_f32_e32 v74, v16, v74                                // 000000006774: 0A949510
	v_mul_f32_e32 v75, v16, v75                                // 000000006778: 0A969710
	ds_read_b64_tr_b16 a[184:185], v14 offset:5120             // 00000000677C: DBC61400 B800000E
	ds_read_b64_tr_b16 a[186:187], v14 offset:5376             // 000000006784: DBC61500 BA00000E
	v_mfma_f32_16x16x32_bf16 v[38:41], a[128:131], a[56:59], v[38:41]// 00000000678C: D3B50026 1C9A7180
	v_mul_f32_e32 v76, v16, v76                                // 000000006794: 0A989910
	v_mul_f32_e32 v77, v16, v77                                // 000000006798: 0A9A9B10
	ds_read_b64_tr_b16 a[188:189], v15 offset:5120             // 00000000679C: DBC61400 BC00000F
	ds_read_b64_tr_b16 a[190:191], v15 offset:5376             // 0000000067A4: DBC61500 BE00000F
	v_mfma_f32_16x16x32_bf16 v[38:41], a[132:135], a[60:63], v[38:41]// 0000000067AC: D3B50026 1C9A7984
	buffer_load_dwordx4 v32, s[20:23], 0 offen offset:512 lds  // 0000000067B4: E05D1200 80050020
	s_add_i32 m0, m0, 0x3c0                                    // 0000000067BC: 817CFF7C 000003C0
	v_mfma_f32_16x16x32_bf16 v[38:41], a[136:139], a[64:67], v[38:41]// 0000000067C4: D3B50026 1C9A8188
	v_mul_f32_e32 v78, v16, v78                                // 0000000067CC: 0A9C9D10
	v_mul_f32_e32 v79, v16, v79                                // 0000000067D0: 0A9E9F10
	ds_read_b64_tr_b16 a[192:193], v14 offset:6144             // 0000000067D4: DBC61800 C000000E
	ds_read_b64_tr_b16 a[194:195], v14 offset:6400             // 0000000067DC: DBC61900 C200000E
	ds_read_b64_tr_b16 a[196:197], v15 offset:6144             // 0000000067E4: DBC61800 C400000F
	ds_read_b64_tr_b16 a[198:199], v15 offset:6400             // 0000000067EC: DBC61900 C600000F
	ds_read_b64_tr_b16 a[200:201], v14 offset:7168             // 0000000067F4: DBC61C00 C800000E
	ds_read_b64_tr_b16 a[202:203], v14 offset:7424             // 0000000067FC: DBC61D00 CA00000E
	ds_read_b64_tr_b16 a[204:205], v15 offset:7168             // 000000006804: DBC61C00 CC00000F
	ds_read_b64_tr_b16 a[206:207], v15 offset:7424             // 00000000680C: DBC61D00 CE00000F
	v_mov_b32_e32 v30, v16                                     // 000000006814: 7E3C0310
	v_mov_b32_e32 v31, v16                                     // 000000006818: 7E3E0310
	v_pk_mul_f32 v[80:81], v[30:31], v[80:81]                  // 00000000681C: D3B14050 1802A11E
	v_pk_mul_f32 v[82:83], v[30:31], v[82:83]                  // 000000006824: D3B14052 1802A51E
	v_pk_mul_f32 v[84:85], v[30:31], v[84:85]                  // 00000000682C: D3B14054 1802A91E
	v_pk_mul_f32 v[86:87], v[30:31], v[86:87]                  // 000000006834: D3B14056 1802AD1E
	v_pk_mul_f32 v[88:89], v[30:31], v[88:89]                  // 00000000683C: D3B14058 1802B11E
	v_pk_mul_f32 v[90:91], v[30:31], v[90:91]                  // 000000006844: D3B1405A 1802B51E
	v_pk_mul_f32 v[92:93], v[30:31], v[92:93]                  // 00000000684C: D3B1405C 1802B91E
	v_pk_mul_f32 v[94:95], v[30:31], v[94:95]                  // 000000006854: D3B1405E 1802BD1E
	v_pk_mul_f32 v[96:97], v[30:31], v[96:97]                  // 00000000685C: D3B14060 1802C11E
	v_pk_mul_f32 v[98:99], v[30:31], v[98:99]                  // 000000006864: D3B14062 1802C51E
	v_pk_mul_f32 v[100:101], v[30:31], v[100:101]              // 00000000686C: D3B14064 1802C91E
	v_pk_mul_f32 v[102:103], v[30:31], v[102:103]              // 000000006874: D3B14066 1802CD1E
	v_pk_mul_f32 v[104:105], v[30:31], v[104:105]              // 00000000687C: D3B14068 1802D11E
	v_pk_mul_f32 v[106:107], v[30:31], v[106:107]              // 000000006884: D3B1406A 1802D51E
	v_pk_mul_f32 v[108:109], v[30:31], v[108:109]              // 00000000688C: D3B1406C 1802D91E
	v_pk_mul_f32 v[110:111], v[30:31], v[110:111]              // 000000006894: D3B1406E 1802DD1E
	v_pk_mul_f32 v[112:113], v[30:31], v[112:113]              // 00000000689C: D3B14070 1802E11E
	v_pk_mul_f32 v[114:115], v[30:31], v[114:115]              // 0000000068A4: D3B14072 1802E51E
	v_pk_mul_f32 v[116:117], v[30:31], v[116:117]              // 0000000068AC: D3B14074 1802E91E
	v_pk_mul_f32 v[118:119], v[30:31], v[118:119]              // 0000000068B4: D3B14076 1802ED1E
	v_pk_mul_f32 v[120:121], v[30:31], v[120:121]              // 0000000068BC: D3B14078 1802F11E
	v_pk_mul_f32 v[122:123], v[30:31], v[122:123]              // 0000000068C4: D3B1407A 1802F51E
	v_pk_mul_f32 v[124:125], v[30:31], v[124:125]              // 0000000068CC: D3B1407C 1802F91E
	v_pk_mul_f32 v[126:127], v[30:31], v[126:127]              // 0000000068D4: D3B1407E 1802FD1E
	v_pk_mul_f32 v[128:129], v[30:31], v[128:129]              // 0000000068DC: D3B14080 1803011E
	v_pk_mul_f32 v[130:131], v[30:31], v[130:131]              // 0000000068E4: D3B14082 1803051E
	v_pk_mul_f32 v[132:133], v[30:31], v[132:133]              // 0000000068EC: D3B14084 1803091E
	v_pk_mul_f32 v[134:135], v[30:31], v[134:135]              // 0000000068F4: D3B14086 18030D1E
	v_pk_mul_f32 v[136:137], v[30:31], v[136:137]              // 0000000068FC: D3B14088 1803111E
	v_pk_mul_f32 v[138:139], v[30:31], v[138:139]              // 000000006904: D3B1408A 1803151E
	v_pk_mul_f32 v[140:141], v[30:31], v[140:141]              // 00000000690C: D3B1408C 1803191E
	v_pk_mul_f32 v[142:143], v[30:31], v[142:143]              // 000000006914: D3B1408E 18031D1E
	v_pk_mul_f32 v[144:145], v[30:31], v[144:145]              // 00000000691C: D3B14090 1803211E
	v_pk_mul_f32 v[146:147], v[30:31], v[146:147]              // 000000006924: D3B14092 1803251E
	v_pk_mul_f32 v[148:149], v[30:31], v[148:149]              // 00000000692C: D3B14094 1803291E
	v_pk_mul_f32 v[150:151], v[30:31], v[150:151]              // 000000006934: D3B14096 18032D1E
	v_pk_mul_f32 v[152:153], v[30:31], v[152:153]              // 00000000693C: D3B14098 1803311E
	v_pk_mul_f32 v[154:155], v[30:31], v[154:155]              // 000000006944: D3B1409A 1803351E
	v_pk_mul_f32 v[156:157], v[30:31], v[156:157]              // 00000000694C: D3B1409C 1803391E
	v_pk_mul_f32 v[158:159], v[30:31], v[158:159]              // 000000006954: D3B1409E 18033D1E
	v_pk_mul_f32 v[160:161], v[30:31], v[160:161]              // 00000000695C: D3B140A0 1803411E
	v_pk_mul_f32 v[162:163], v[30:31], v[162:163]              // 000000006964: D3B140A2 1803451E
	v_pk_mul_f32 v[164:165], v[30:31], v[164:165]              // 00000000696C: D3B140A4 1803491E
	v_pk_mul_f32 v[166:167], v[30:31], v[166:167]              // 000000006974: D3B140A6 18034D1E
	v_pk_mul_f32 v[168:169], v[30:31], v[168:169]              // 00000000697C: D3B140A8 1803511E
	v_pk_mul_f32 v[170:171], v[30:31], v[170:171]              // 000000006984: D3B140AA 1803551E
	v_pk_mul_f32 v[172:173], v[30:31], v[172:173]              // 00000000698C: D3B140AC 1803591E
	v_pk_mul_f32 v[174:175], v[30:31], v[174:175]              // 000000006994: D3B140AE 18035D1E
	v_pk_mul_f32 v[176:177], v[30:31], v[176:177]              // 00000000699C: D3B140B0 1803611E
	v_mfma_f32_16x16x32_bf16 v[38:41], a[140:143], a[68:71], v[38:41]// 0000000069A4: D3B50026 1C9A898C
	s_addk_i32 s70, 0x1                                        // 0000000069AC: B7460001
	s_cmp_lt_i32 s70, s71                                      // 0000000069B0: BF044746
	s_cbranch_scc0 label_3B3C                                  // 0000000069B4: BF84FDA1
	s_waitcnt lgkmcnt(0)                                       // 0000000069B8: BF8CC07F
	v_mul_u32_u24_e64 v32, v23, s68                            // 0000000069BC: D1080020 00008917
	v_add_u32_e32 v32, v32, v1                                 // 0000000069C4: 68400320
	v_mfma_f32_16x16x32_bf16 v[50:53], a[144:147], v[42:45], v[50:53]// 0000000069C8: D3B50032 0CCA5590
	v_mov_b32_e32 v29, v34                                     // 0000000069D0: 7E3A0322
	v_max3_f32 v29, v34, v35, v29                              // 0000000069D4: D1D3001D 04764722
	v_mfma_f32_16x16x32_bf16 v[54:57], a[148:151], v[42:45], v[54:57]// 0000000069DC: D3B50036 0CDA5594
	ds_read_b64_tr_b16 a[144:145], v14 offset:8192             // 0000000069E4: DBC62000 9000000E
	ds_read_b64_tr_b16 a[146:147], v14 offset:8448             // 0000000069EC: DBC62100 9200000E
	v_mfma_f32_16x16x32_bf16 v[58:61], a[152:155], v[42:45], v[58:61]// 0000000069F4: D3B5003A 0CEA5598
	v_max3_f32 v29, v36, v37, v29                              // 0000000069FC: D1D3001D 04764B24
	v_max3_f32 v29, v38, v39, v29                              // 000000006A04: D1D3001D 04764F26
	v_mfma_f32_16x16x32_bf16 v[62:65], a[156:159], v[42:45], v[62:65]// 000000006A0C: D3B5003E 0CFA559C
	ds_read_b64_tr_b16 a[148:149], v15 offset:8192             // 000000006A14: DBC62000 9400000F
	ds_read_b64_tr_b16 a[150:151], v15 offset:8448             // 000000006A1C: DBC62100 9600000F
	v_mfma_f32_16x16x32_bf16 v[66:69], a[160:163], v[42:45], v[66:69]// 000000006A24: D3B50042 0D0A55A0
	v_max3_f32 v29, v40, v41, v29                              // 000000006A2C: D1D3001D 04765328
	v_mov_b32_e32 v28, v29                                     // 000000006A34: 7E38031D
	v_mfma_f32_16x16x32_bf16 v[70:73], a[164:167], v[42:45], v[70:73]// 000000006A38: D3B50046 0D1A55A4
	ds_read_b64_tr_b16 a[152:153], v14 offset:9216             // 000000006A40: DBC62400 9800000E
	ds_read_b64_tr_b16 a[154:155], v14 offset:9472             // 000000006A48: DBC62500 9A00000E
	v_mfma_f32_16x16x32_bf16 v[74:77], a[168:171], v[42:45], v[74:77]// 000000006A50: D3B5004A 0D2A55A8
	v_mov_b32_e32 v29, v29                                     // 000000006A58: 7E3A031D
	s_nop 1                                                    // 000000006A5C: BF800001
	v_mfma_f32_16x16x32_bf16 v[78:81], a[172:175], v[42:45], v[78:81]// 000000006A60: D3B5004E 0D3A55AC
	ds_read_b64_tr_b16 a[156:157], v15 offset:9216             // 000000006A68: DBC62400 9C00000F
	ds_read_b64_tr_b16 a[158:159], v15 offset:9472             // 000000006A70: DBC62500 9E00000F
	v_mfma_f32_16x16x32_bf16 v[82:85], a[176:179], v[42:45], v[82:85]// 000000006A78: D3B50052 0D4A55B0
	v_permlane16_swap_b32_e32 v28, v29                         // 000000006A80: 7E38B31D
	v_mfma_f32_16x16x32_bf16 v[86:89], a[180:183], v[42:45], v[86:89]// 000000006A84: D3B50056 0D5A55B4
	ds_read_b64_tr_b16 a[160:161], v14 offset:10240            // 000000006A8C: DBC62800 A000000E
	ds_read_b64_tr_b16 a[162:163], v14 offset:10496            // 000000006A94: DBC62900 A200000E
	v_mfma_f32_16x16x32_bf16 v[90:93], a[184:187], v[42:45], v[90:93]// 000000006A9C: D3B5005A 0D6A55B8
	v_mov_b32_e32 v31, v28                                     // 000000006AA4: 7E3E031C
	v_mov_b32_e32 v30, v29                                     // 000000006AA8: 7E3C031D
	v_mfma_f32_16x16x32_bf16 v[94:97], a[188:191], v[42:45], v[94:97]// 000000006AAC: D3B5005E 0D7A55BC
	ds_read_b64_tr_b16 a[164:165], v15 offset:10240            // 000000006AB4: DBC62800 A400000F
	ds_read_b64_tr_b16 a[166:167], v15 offset:10496            // 000000006ABC: DBC62900 A600000F
	v_mfma_f32_16x16x32_bf16 v[98:101], a[192:195], v[42:45], v[98:101]// 000000006AC4: D3B50062 0D8A55C0
	s_nop 1                                                    // 000000006ACC: BF800001
	v_permlane32_swap_b32_e32 v28, v29                         // 000000006AD0: 7E38B51D
	v_mfma_f32_16x16x32_bf16 v[102:105], a[196:199], v[42:45], v[102:105]// 000000006AD4: D3B50066 0D9A55C4
	ds_read_b64_tr_b16 a[168:169], v14 offset:11264            // 000000006ADC: DBC62C00 A800000E
	ds_read_b64_tr_b16 a[170:171], v14 offset:11520            // 000000006AE4: DBC62D00 AA00000E
	v_mfma_f32_16x16x32_bf16 v[106:109], a[200:203], v[42:45], v[106:109]// 000000006AEC: D3B5006A 0DAA55C8
	v_permlane32_swap_b32_e32 v30, v31                         // 000000006AF4: 7E3CB51F
	v_mfma_f32_16x16x32_bf16 v[110:113], a[204:207], v[42:45], v[110:113]// 000000006AF8: D3B5006E 0DBA55CC
	ds_read_b64_tr_b16 a[172:173], v15 offset:11264            // 000000006B00: DBC62C00 AC00000F
	ds_read_b64_tr_b16 a[174:175], v15 offset:11520            // 000000006B08: DBC62D00 AE00000F
	ds_read_b64_tr_b16 a[176:177], v14 offset:12288            // 000000006B10: DBC63000 B000000E
	ds_read_b64_tr_b16 a[178:179], v14 offset:12544            // 000000006B18: DBC63100 B200000E
	ds_read_b64_tr_b16 a[180:181], v15 offset:12288            // 000000006B20: DBC63000 B400000F
	ds_read_b64_tr_b16 a[182:183], v15 offset:12544            // 000000006B28: DBC63100 B600000F
	ds_read_b64_tr_b16 a[184:185], v14 offset:13312            // 000000006B30: DBC63400 B800000E
	ds_read_b64_tr_b16 a[186:187], v14 offset:13568            // 000000006B38: DBC63500 BA00000E
	ds_read_b64_tr_b16 a[188:189], v15 offset:13312            // 000000006B40: DBC63400 BC00000F
	ds_read_b64_tr_b16 a[190:191], v15 offset:13568            // 000000006B48: DBC63500 BE00000F
	s_waitcnt lgkmcnt(0)                                       // 000000006B50: BF8CC07F
	v_mfma_f32_16x16x32_bf16 v[114:117], a[144:147], v[42:45], v[114:117]// 000000006B54: D3B50072 0DCA5590
	ds_read_b64_tr_b16 a[192:193], v14 offset:14336            // 000000006B5C: DBC63800 C000000E
	ds_read_b64_tr_b16 a[194:195], v14 offset:14592            // 000000006B64: DBC63900 C200000E
	v_mfma_f32_16x16x32_bf16 v[118:121], a[148:151], v[42:45], v[118:121]// 000000006B6C: D3B50076 0DDA5594
	s_waitcnt vmcnt(10)                                        // 000000006B74: BF8C0F7A
	s_barrier                                                  // 000000006B78: BF8A0000
	ds_read_b128 a[72:75], v19                                 // 000000006B7C: DBFE0000 48000013
	ds_read_b128 a[76:79], v19 offset:1024                     // 000000006B84: DBFE0400 4C000013
	v_mfma_f32_16x16x32_bf16 v[122:125], a[152:155], v[42:45], v[122:125]// 000000006B8C: D3B5007A 0DEA5598
	ds_read_b64_tr_b16 a[196:197], v15 offset:14336            // 000000006B94: DBC63800 C400000F
	ds_read_b64_tr_b16 a[198:199], v15 offset:14592            // 000000006B9C: DBC63900 C600000F
	v_mfma_f32_16x16x32_bf16 v[126:129], a[156:159], v[42:45], v[126:129]// 000000006BA4: D3B5007E 0DFA559C
	ds_read_b128 a[80:83], v19 offset:2048                     // 000000006BAC: DBFE0800 50000013
	ds_read_b128 a[84:87], v19 offset:3072                     // 000000006BB4: DBFE0C00 54000013
	v_mfma_f32_16x16x32_bf16 v[130:133], a[160:163], v[42:45], v[130:133]// 000000006BBC: D3B50082 0E0A55A0
	ds_read_b64_tr_b16 a[200:201], v14 offset:15360            // 000000006BC4: DBC63C00 C800000E
	ds_read_b64_tr_b16 a[202:203], v14 offset:15616            // 000000006BCC: DBC63D00 CA00000E
	v_mfma_f32_16x16x32_bf16 v[134:137], a[164:167], v[42:45], v[134:137]// 000000006BD4: D3B50086 0E1A55A4
	ds_read_b128 a[88:91], v19 offset:4096                     // 000000006BDC: DBFE1000 58000013
	ds_read_b128 a[92:95], v19 offset:5120                     // 000000006BE4: DBFE1400 5C000013
	v_mfma_f32_16x16x32_bf16 v[138:141], a[168:171], v[42:45], v[138:141]// 000000006BEC: D3B5008A 0E2A55A8
	ds_read_b64_tr_b16 a[204:205], v15 offset:15360            // 000000006BF4: DBC63C00 CC00000F
	ds_read_b64_tr_b16 a[206:207], v15 offset:15616            // 000000006BFC: DBC63D00 CE00000F
	v_mfma_f32_16x16x32_bf16 v[142:145], a[172:175], v[42:45], v[142:145]// 000000006C04: D3B5008E 0E3A55AC
	ds_read_b128 a[96:99], v19 offset:6144                     // 000000006C0C: DBFE1800 60000013
	ds_read_b128 a[100:103], v19 offset:7168                   // 000000006C14: DBFE1C00 64000013
	v_mfma_f32_16x16x32_bf16 v[146:149], a[176:179], v[42:45], v[146:149]// 000000006C1C: D3B50092 0E4A55B0
	v_max3_f32 v29, v28, v29, v29                              // 000000006C24: D1D3001D 04763B1C
	v_max3_f32 v29, v30, v31, v29                              // 000000006C2C: D1D3001D 04763F1E
	v_mfma_f32_16x16x32_bf16 v[150:153], a[180:183], v[42:45], v[150:153]// 000000006C34: D3B50096 0E5A55B4
	ds_read_b128 a[104:107], v19 offset:8192                   // 000000006C3C: DBFE2000 68000013
	ds_read_b128 a[108:111], v19 offset:9216                   // 000000006C44: DBFE2400 6C000013
	v_mfma_f32_16x16x32_bf16 v[154:157], a[184:187], v[42:45], v[154:157]// 000000006C4C: D3B5009A 0E6A55B8
	v_mov_b32_e32 v28, 0xff800000                              // 000000006C54: 7E3802FF FF800000
	v_cmp_eq_u32_e64 s[36:37], v28, v2                         // 000000006C5C: D0CA0024 0002051C
	v_mfma_f32_16x16x32_bf16 v[158:161], a[188:191], v[42:45], v[158:161]// 000000006C64: D3B5009E 0E7A55BC
	ds_read_b128 a[112:115], v19 offset:10240                  // 000000006C6C: DBFE2800 70000013
	ds_read_b128 a[116:119], v19 offset:11264                  // 000000006C74: DBFE2C00 74000013
	v_mfma_f32_16x16x32_bf16 v[162:165], a[192:195], v[42:45], v[162:165]// 000000006C7C: D3B500A2 0E8A55C0
	v_max_f32_e32 v29, v29, v2                                 // 000000006C84: 163A051D
	v_sub_f32_e32 v16, v2, v29                                 // 000000006C88: 04203B02
	v_mfma_f32_16x16x32_bf16 v[166:169], a[196:199], v[42:45], v[166:169]// 000000006C8C: D3B500A6 0E9A55C4
	ds_read_b128 a[120:123], v19 offset:12288                  // 000000006C94: DBFE3000 78000013
	ds_read_b128 a[124:127], v19 offset:13312                  // 000000006C9C: DBFE3400 7C000013
	v_mfma_f32_16x16x32_bf16 v[170:173], a[200:203], v[42:45], v[170:173]// 000000006CA4: D3B500AA 0EAA55C8
	v_cndmask_b32_e64 v16, v16, 0, s[36:37]                    // 000000006CAC: D1000010 00910110
	v_mov_b32_e32 v2, v29                                      // 000000006CB4: 7E04031D
	v_mfma_f32_16x16x32_bf16 v[174:177], a[204:207], v[42:45], v[174:177]// 000000006CB8: D3B500AE 0EBA55CC
	ds_read_b128 a[128:131], v19 offset:14336                  // 000000006CC0: DBFE3800 80000013
	ds_read_b128 a[132:135], v19 offset:15360                  // 000000006CC8: DBFE3C00 84000013
	ds_read_b128 a[136:139], v19 offset:16384                  // 000000006CD0: DBFE4000 88000013
	ds_read_b128 a[140:143], v19 offset:17408                  // 000000006CD8: DBFE4400 8C000013
	s_waitcnt lgkmcnt(0)                                       // 000000006CE0: BF8CC07F
	v_mfma_f32_16x16x32_bf16 v[42:45], a[72:75], a[0:3], 0     // 000000006CE4: D3B5002A 1A020148
	buffer_load_dword v25, v26, s[24:27], 0 offen              // 000000006CEC: E0501000 8006191A
	v_mul_f32_e32 v29, s5, v29                                 // 000000006CF4: 0A3A3A05
	s_mov_b32 s56, 0x1d000                                     // 000000006CF8: BEB800FF 0001D000
	s_mul_i32 s57, s7, 0x2400                                  // 000000006D00: 9239FF07 00002400
	s_add_u32 m0, s56, s57                                     // 000000006D08: 807C3938
	buffer_load_dwordx4 v32, s[20:23], 0 offen lds             // 000000006D0C: E05D1000 80050020
	s_add_i32 m0, m0, 0x3c0                                    // 000000006D14: 817CFF7C 000003C0
	v_mfma_f32_16x16x32_bf16 v[42:45], a[76:79], a[4:7], v[42:45]// 000000006D1C: D3B5002A 1CAA094C
	buffer_load_dwordx4 v32, s[20:23], 0 offen offset:64 lds   // 000000006D24: E05D1040 80050020
	s_add_i32 m0, m0, 0x3c0                                    // 000000006D2C: 817CFF7C 000003C0
	v_mfma_f32_16x16x32_bf16 v[42:45], a[80:83], a[8:11], v[42:45]// 000000006D34: D3B5002A 1CAA1150
	v_mul_f32_e32 v16, s5, v16                                 // 000000006D3C: 0A202005
	v_exp_f32_e32 v16, v16                                     // 000000006D40: 7E204110
	v_mfma_f32_16x16x32_bf16 v[42:45], a[84:87], a[12:15], v[42:45]// 000000006D44: D3B5002A 1CAA1954
	v_add_u32_e32 v26, s73, v26                                // 000000006D4C: 68343449
	ds_read_b128 a[72:75], v19 offset:18432                    // 000000006D50: DBFE4800 48000013
	ds_read_b128 a[76:79], v19 offset:19456                    // 000000006D58: DBFE4C00 4C000013
	v_fma_f32 v34, v34, s5, -v29                               // 000000006D60: D1CB0022 84740B22
	v_mfma_f32_16x16x32_bf16 v[42:45], a[88:91], a[16:19], v[42:45]// 000000006D68: D3B5002A 1CAA2158
	ds_read_b128 a[80:83], v19 offset:20480                    // 000000006D70: DBFE5000 50000013
	ds_read_b128 a[84:87], v19 offset:21504                    // 000000006D78: DBFE5400 54000013
	v_fma_f32 v35, v35, s5, -v29                               // 000000006D80: D1CB0023 84740B23
	v_mfma_f32_16x16x32_bf16 v[42:45], a[92:95], a[20:23], v[42:45]// 000000006D88: D3B5002A 1CAA295C
	buffer_load_dwordx4 v32, s[20:23], 0 offen offset:128 lds  // 000000006D90: E05D1080 80050020
	s_add_i32 m0, m0, 0x3c0                                    // 000000006D98: 817CFF7C 000003C0
	v_mfma_f32_16x16x32_bf16 v[42:45], a[96:99], a[24:27], v[42:45]// 000000006DA0: D3B5002A 1CAA3160
	v_fma_f32 v36, v36, s5, -v29                               // 000000006DA8: D1CB0024 84740B24
	v_fma_f32 v37, v37, s5, -v29                               // 000000006DB0: D1CB0025 84740B25
	v_mfma_f32_16x16x32_bf16 v[42:45], a[100:103], a[28:31], v[42:45]// 000000006DB8: D3B5002A 1CAA3964
	ds_read_b128 a[88:91], v19 offset:22528                    // 000000006DC0: DBFE5800 58000013
	ds_read_b128 a[92:95], v19 offset:23552                    // 000000006DC8: DBFE5C00 5C000013
	v_fma_f32 v38, v38, s5, -v29                               // 000000006DD0: D1CB0026 84740B26
	v_mfma_f32_16x16x32_bf16 v[42:45], a[104:107], a[32:35], v[42:45]// 000000006DD8: D3B5002A 1CAA4168
	ds_read_b128 a[96:99], v19 offset:24576                    // 000000006DE0: DBFE6000 60000013
	ds_read_b128 a[100:103], v19 offset:25600                  // 000000006DE8: DBFE6400 64000013
	v_fma_f32 v39, v39, s5, -v29                               // 000000006DF0: D1CB0027 84740B27
	v_mfma_f32_16x16x32_bf16 v[42:45], a[108:111], a[36:39], v[42:45]// 000000006DF8: D3B5002A 1CAA496C
	buffer_load_dwordx4 v32, s[20:23], 0 offen offset:192 lds  // 000000006E00: E05D10C0 80050020
	s_add_i32 m0, m0, 0x3c0                                    // 000000006E08: 817CFF7C 000003C0
	v_mfma_f32_16x16x32_bf16 v[42:45], a[112:115], a[40:43], v[42:45]// 000000006E10: D3B5002A 1CAA5170
	v_fma_f32 v40, v40, s5, -v29                               // 000000006E18: D1CB0028 84740B28
	v_fma_f32 v41, v41, s5, -v29                               // 000000006E20: D1CB0029 84740B29
	v_mfma_f32_16x16x32_bf16 v[42:45], a[116:119], a[44:47], v[42:45]// 000000006E28: D3B5002A 1CAA5974
	v_exp_f32_e32 v34, v34                                     // 000000006E30: 7E444122
	v_mfma_f32_16x16x32_bf16 v[42:45], a[120:123], a[48:51], v[42:45]// 000000006E34: D3B5002A 1CAA6178
	ds_read_b128 a[104:107], v19 offset:26624                  // 000000006E3C: DBFE6800 68000013
	ds_read_b128 a[108:111], v19 offset:27648                  // 000000006E44: DBFE6C00 6C000013
	v_exp_f32_e32 v35, v35                                     // 000000006E4C: 7E464123
	v_mfma_f32_16x16x32_bf16 v[42:45], a[124:127], a[52:55], v[42:45]// 000000006E50: D3B5002A 1CAA697C
	buffer_load_dwordx4 v32, s[20:23], 0 offen offset:256 lds  // 000000006E58: E05D1100 80050020
	s_add_i32 m0, m0, 0x3c0                                    // 000000006E60: 817CFF7C 000003C0
	v_mfma_f32_16x16x32_bf16 v[42:45], a[128:131], a[56:59], v[42:45]// 000000006E68: D3B5002A 1CAA7180
	v_exp_f32_e32 v36, v36                                     // 000000006E70: 7E484124
	v_mfma_f32_16x16x32_bf16 v[42:45], a[132:135], a[60:63], v[42:45]// 000000006E74: D3B5002A 1CAA7984
	ds_read_b128 a[112:115], v19 offset:28672                  // 000000006E7C: DBFE7000 70000013
	ds_read_b128 a[116:119], v19 offset:29696                  // 000000006E84: DBFE7400 74000013
	v_exp_f32_e32 v37, v37                                     // 000000006E8C: 7E4A4125
	v_mfma_f32_16x16x32_bf16 v[42:45], a[136:139], a[64:67], v[42:45]// 000000006E90: D3B5002A 1CAA8188
	ds_read_b128 a[120:123], v19 offset:30720                  // 000000006E98: DBFE7800 78000013
	ds_read_b128 a[124:127], v19 offset:31744                  // 000000006EA0: DBFE7C00 7C000013
	v_exp_f32_e32 v38, v38                                     // 000000006EA8: 7E4C4126
	v_mfma_f32_16x16x32_bf16 v[42:45], a[140:143], a[68:71], v[42:45]// 000000006EAC: D3B5002A 1CAA898C
	ds_read_b128 a[128:131], v19 offset:32768                  // 000000006EB4: DBFE8000 80000013
	ds_read_b128 a[132:135], v19 offset:33792                  // 000000006EBC: DBFE8400 84000013
	v_exp_f32_e32 v39, v39                                     // 000000006EC4: 7E4E4127
	ds_read_b128 a[136:139], v19 offset:34816                  // 000000006EC8: DBFE8800 88000013
	ds_read_b128 a[140:143], v19 offset:35840                  // 000000006ED0: DBFE8C00 8C000013
	v_exp_f32_e32 v40, v40                                     // 000000006ED8: 7E504128
	v_exp_f32_e32 v41, v41                                     // 000000006EDC: 7E524129
	v_mul_f32_e32 v4, v16, v4                                  // 000000006EE0: 0A080910
	v_mov_b32_e32 v28, v34                                     // 000000006EE4: 7E380322
	v_add_f32_e32 v28, v35, v28                                // 000000006EE8: 02383923
	v_add_f32_e32 v28, v36, v28                                // 000000006EEC: 02383924
	v_add_f32_e32 v28, v37, v28                                // 000000006EF0: 02383925
	v_add_f32_e32 v28, v38, v28                                // 000000006EF4: 02383926
	v_add_f32_e32 v28, v39, v28                                // 000000006EF8: 02383927
	v_add_f32_e32 v28, v40, v28                                // 000000006EFC: 02383928
	v_add_f32_e32 v28, v41, v28                                // 000000006F00: 02383929
	v_add_f32_e32 v4, v28, v4                                  // 000000006F04: 0208091C
	v_cvt_pk_bf16_f32 v34, v34, v35                            // 000000006F08: D2680022 00024722
	v_cvt_pk_bf16_f32 v35, v36, v37                            // 000000006F10: D2680023 00024B24
	v_cvt_pk_bf16_f32 v36, v38, v39                            // 000000006F18: D2680024 00024F26
	v_cvt_pk_bf16_f32 v37, v40, v41                            // 000000006F20: D2680025 00025328
	s_nop 0                                                    // 000000006F28: BF800000
	v_permlane32_swap_b32_e32 v34, v36                         // 000000006F2C: 7E44B524
	v_permlane32_swap_b32_e32 v35, v37                         // 000000006F30: 7E46B525
	s_nop 0                                                    // 000000006F34: BF800000
	v_permlane16_swap_b32_e32 v34, v36                         // 000000006F38: 7E44B324
	v_permlane16_swap_b32_e32 v35, v37                         // 000000006F3C: 7E46B325
	s_waitcnt lgkmcnt(0)                                       // 000000006F40: BF8CC07F
	v_mfma_f32_16x16x32_bf16 v[46:49], a[72:75], a[0:3], 0     // 000000006F44: D3B5002E 1A020148
	v_mul_f32_e32 v50, v16, v50                                // 000000006F4C: 0A646510
	v_mul_f32_e32 v51, v16, v51                                // 000000006F50: 0A666710
	ds_read_b64_tr_b16 a[144:145], v8                          // 000000006F54: DBC60000 90000008
	ds_read_b64_tr_b16 a[146:147], v8 offset:256               // 000000006F5C: DBC60100 92000008
	v_mfma_f32_16x16x32_bf16 v[46:49], a[76:79], a[4:7], v[46:49]// 000000006F64: D3B5002E 1CBA094C
	buffer_load_dwordx4 v32, s[20:23], 0 offen offset:320 lds  // 000000006F6C: E05D1140 80050020
	s_add_i32 m0, m0, 0x3c0                                    // 000000006F74: 817CFF7C 000003C0
	v_mul_f32_e32 v52, v16, v52                                // 000000006F7C: 0A686910
	v_mul_f32_e32 v53, v16, v53                                // 000000006F80: 0A6A6B10
	v_mfma_f32_16x16x32_bf16 v[46:49], a[80:83], a[8:11], v[46:49]// 000000006F84: D3B5002E 1CBA1150
	v_mul_f32_e32 v54, v16, v54                                // 000000006F8C: 0A6C6D10
	v_mul_f32_e32 v55, v16, v55                                // 000000006F90: 0A6E6F10
	ds_read_b64_tr_b16 a[148:149], v9                          // 000000006F94: DBC60000 94000009
	ds_read_b64_tr_b16 a[150:151], v9 offset:256               // 000000006F9C: DBC60100 96000009
	v_mfma_f32_16x16x32_bf16 v[46:49], a[84:87], a[12:15], v[46:49]// 000000006FA4: D3B5002E 1CBA1954
	v_mul_f32_e32 v56, v16, v56                                // 000000006FAC: 0A707110
	v_mul_f32_e32 v57, v16, v57                                // 000000006FB0: 0A727310
	ds_read_b64_tr_b16 a[152:153], v8 offset:1024              // 000000006FB4: DBC60400 98000008
	ds_read_b64_tr_b16 a[154:155], v8 offset:1280              // 000000006FBC: DBC60500 9A000008
	v_mfma_f32_16x16x32_bf16 v[46:49], a[88:91], a[16:19], v[46:49]// 000000006FC4: D3B5002E 1CBA2158
	v_mul_f32_e32 v58, v16, v58                                // 000000006FCC: 0A747510
	v_mul_f32_e32 v59, v16, v59                                // 000000006FD0: 0A767710
	ds_read_b64_tr_b16 a[156:157], v9 offset:1024              // 000000006FD4: DBC60400 9C000009
	ds_read_b64_tr_b16 a[158:159], v9 offset:1280              // 000000006FDC: DBC60500 9E000009
	v_mfma_f32_16x16x32_bf16 v[46:49], a[92:95], a[20:23], v[46:49]// 000000006FE4: D3B5002E 1CBA295C
	v_mul_f32_e32 v60, v16, v60                                // 000000006FEC: 0A787910
	v_mul_f32_e32 v61, v16, v61                                // 000000006FF0: 0A7A7B10
	ds_read_b64_tr_b16 a[160:161], v8 offset:2048              // 000000006FF4: DBC60800 A0000008
	ds_read_b64_tr_b16 a[162:163], v8 offset:2304              // 000000006FFC: DBC60900 A2000008
	v_mfma_f32_16x16x32_bf16 v[46:49], a[96:99], a[24:27], v[46:49]// 000000007004: D3B5002E 1CBA3160
	v_mul_f32_e32 v62, v16, v62                                // 00000000700C: 0A7C7D10
	v_mul_f32_e32 v63, v16, v63                                // 000000007010: 0A7E7F10
	ds_read_b64_tr_b16 a[164:165], v9 offset:2048              // 000000007014: DBC60800 A4000009
	ds_read_b64_tr_b16 a[166:167], v9 offset:2304              // 00000000701C: DBC60900 A6000009
	v_mfma_f32_16x16x32_bf16 v[46:49], a[100:103], a[28:31], v[46:49]// 000000007024: D3B5002E 1CBA3964
	buffer_load_dwordx4 v32, s[20:23], 0 offen offset:384 lds  // 00000000702C: E05D1180 80050020
	s_add_i32 m0, m0, 0x3c0                                    // 000000007034: 817CFF7C 000003C0
	v_mfma_f32_16x16x32_bf16 v[46:49], a[104:107], a[32:35], v[46:49]// 00000000703C: D3B5002E 1CBA4168
	v_mul_f32_e32 v64, v16, v64                                // 000000007044: 0A808110
	v_mul_f32_e32 v65, v16, v65                                // 000000007048: 0A828310
	ds_read_b64_tr_b16 a[168:169], v8 offset:3072              // 00000000704C: DBC60C00 A8000008
	ds_read_b64_tr_b16 a[170:171], v8 offset:3328              // 000000007054: DBC60D00 AA000008
	v_mfma_f32_16x16x32_bf16 v[46:49], a[108:111], a[36:39], v[46:49]// 00000000705C: D3B5002E 1CBA496C
	v_mul_f32_e32 v66, v16, v66                                // 000000007064: 0A848510
	v_mul_f32_e32 v67, v16, v67                                // 000000007068: 0A868710
	ds_read_b64_tr_b16 a[172:173], v9 offset:3072              // 00000000706C: DBC60C00 AC000009
	ds_read_b64_tr_b16 a[174:175], v9 offset:3328              // 000000007074: DBC60D00 AE000009
	v_mfma_f32_16x16x32_bf16 v[46:49], a[112:115], a[40:43], v[46:49]// 00000000707C: D3B5002E 1CBA5170
	v_mul_f32_e32 v68, v16, v68                                // 000000007084: 0A888910
	v_mul_f32_e32 v69, v16, v69                                // 000000007088: 0A8A8B10
	ds_read_b64_tr_b16 a[176:177], v8 offset:4096              // 00000000708C: DBC61000 B0000008
	ds_read_b64_tr_b16 a[178:179], v8 offset:4352              // 000000007094: DBC61100 B2000008
	v_mfma_f32_16x16x32_bf16 v[46:49], a[116:119], a[44:47], v[46:49]// 00000000709C: D3B5002E 1CBA5974
	buffer_load_dwordx4 v32, s[20:23], 0 offen offset:448 lds  // 0000000070A4: E05D11C0 80050020
	s_add_i32 m0, m0, 0x3c0                                    // 0000000070AC: 817CFF7C 000003C0
	v_mul_f32_e32 v70, v16, v70                                // 0000000070B4: 0A8C8D10
	v_mul_f32_e32 v71, v16, v71                                // 0000000070B8: 0A8E8F10
	v_mfma_f32_16x16x32_bf16 v[46:49], a[120:123], a[48:51], v[46:49]// 0000000070BC: D3B5002E 1CBA6178
	v_mul_f32_e32 v72, v16, v72                                // 0000000070C4: 0A909110
	v_mul_f32_e32 v73, v16, v73                                // 0000000070C8: 0A929310
	ds_read_b64_tr_b16 a[180:181], v9 offset:4096              // 0000000070CC: DBC61000 B4000009
	ds_read_b64_tr_b16 a[182:183], v9 offset:4352              // 0000000070D4: DBC61100 B6000009
	v_mfma_f32_16x16x32_bf16 v[46:49], a[124:127], a[52:55], v[46:49]// 0000000070DC: D3B5002E 1CBA697C
	v_mul_f32_e32 v74, v16, v74                                // 0000000070E4: 0A949510
	v_mul_f32_e32 v75, v16, v75                                // 0000000070E8: 0A969710
	ds_read_b64_tr_b16 a[184:185], v8 offset:5120              // 0000000070EC: DBC61400 B8000008
	ds_read_b64_tr_b16 a[186:187], v8 offset:5376              // 0000000070F4: DBC61500 BA000008
	v_mfma_f32_16x16x32_bf16 v[46:49], a[128:131], a[56:59], v[46:49]// 0000000070FC: D3B5002E 1CBA7180
	v_mul_f32_e32 v76, v16, v76                                // 000000007104: 0A989910
	v_mul_f32_e32 v77, v16, v77                                // 000000007108: 0A9A9B10
	ds_read_b64_tr_b16 a[188:189], v9 offset:5120              // 00000000710C: DBC61400 BC000009
	ds_read_b64_tr_b16 a[190:191], v9 offset:5376              // 000000007114: DBC61500 BE000009
	v_mfma_f32_16x16x32_bf16 v[46:49], a[132:135], a[60:63], v[46:49]// 00000000711C: D3B5002E 1CBA7984
	buffer_load_dwordx4 v32, s[20:23], 0 offen offset:512 lds  // 000000007124: E05D1200 80050020
	s_add_i32 m0, m0, 0x3c0                                    // 00000000712C: 817CFF7C 000003C0
	v_mfma_f32_16x16x32_bf16 v[46:49], a[136:139], a[64:67], v[46:49]// 000000007134: D3B5002E 1CBA8188
	v_mul_f32_e32 v78, v16, v78                                // 00000000713C: 0A9C9D10
	v_mul_f32_e32 v79, v16, v79                                // 000000007140: 0A9E9F10
	ds_read_b64_tr_b16 a[192:193], v8 offset:6144              // 000000007144: DBC61800 C0000008
	ds_read_b64_tr_b16 a[194:195], v8 offset:6400              // 00000000714C: DBC61900 C2000008
	ds_read_b64_tr_b16 a[196:197], v9 offset:6144              // 000000007154: DBC61800 C4000009
	ds_read_b64_tr_b16 a[198:199], v9 offset:6400              // 00000000715C: DBC61900 C6000009
	ds_read_b64_tr_b16 a[200:201], v8 offset:7168              // 000000007164: DBC61C00 C8000008
	ds_read_b64_tr_b16 a[202:203], v8 offset:7424              // 00000000716C: DBC61D00 CA000008
	ds_read_b64_tr_b16 a[204:205], v9 offset:7168              // 000000007174: DBC61C00 CC000009
	ds_read_b64_tr_b16 a[206:207], v9 offset:7424              // 00000000717C: DBC61D00 CE000009
	v_mov_b32_e32 v30, v16                                     // 000000007184: 7E3C0310
	v_mov_b32_e32 v31, v16                                     // 000000007188: 7E3E0310
	v_pk_mul_f32 v[80:81], v[30:31], v[80:81]                  // 00000000718C: D3B14050 1802A11E
	v_pk_mul_f32 v[82:83], v[30:31], v[82:83]                  // 000000007194: D3B14052 1802A51E
	v_pk_mul_f32 v[84:85], v[30:31], v[84:85]                  // 00000000719C: D3B14054 1802A91E
	v_pk_mul_f32 v[86:87], v[30:31], v[86:87]                  // 0000000071A4: D3B14056 1802AD1E
	v_pk_mul_f32 v[88:89], v[30:31], v[88:89]                  // 0000000071AC: D3B14058 1802B11E
	v_pk_mul_f32 v[90:91], v[30:31], v[90:91]                  // 0000000071B4: D3B1405A 1802B51E
	v_pk_mul_f32 v[92:93], v[30:31], v[92:93]                  // 0000000071BC: D3B1405C 1802B91E
	v_pk_mul_f32 v[94:95], v[30:31], v[94:95]                  // 0000000071C4: D3B1405E 1802BD1E
	v_pk_mul_f32 v[96:97], v[30:31], v[96:97]                  // 0000000071CC: D3B14060 1802C11E
	v_pk_mul_f32 v[98:99], v[30:31], v[98:99]                  // 0000000071D4: D3B14062 1802C51E
	v_pk_mul_f32 v[100:101], v[30:31], v[100:101]              // 0000000071DC: D3B14064 1802C91E
	v_pk_mul_f32 v[102:103], v[30:31], v[102:103]              // 0000000071E4: D3B14066 1802CD1E
	v_pk_mul_f32 v[104:105], v[30:31], v[104:105]              // 0000000071EC: D3B14068 1802D11E
	v_pk_mul_f32 v[106:107], v[30:31], v[106:107]              // 0000000071F4: D3B1406A 1802D51E
	v_pk_mul_f32 v[108:109], v[30:31], v[108:109]              // 0000000071FC: D3B1406C 1802D91E
	v_pk_mul_f32 v[110:111], v[30:31], v[110:111]              // 000000007204: D3B1406E 1802DD1E
	v_pk_mul_f32 v[112:113], v[30:31], v[112:113]              // 00000000720C: D3B14070 1802E11E
	v_pk_mul_f32 v[114:115], v[30:31], v[114:115]              // 000000007214: D3B14072 1802E51E
	v_pk_mul_f32 v[116:117], v[30:31], v[116:117]              // 00000000721C: D3B14074 1802E91E
	v_pk_mul_f32 v[118:119], v[30:31], v[118:119]              // 000000007224: D3B14076 1802ED1E
	v_pk_mul_f32 v[120:121], v[30:31], v[120:121]              // 00000000722C: D3B14078 1802F11E
	v_pk_mul_f32 v[122:123], v[30:31], v[122:123]              // 000000007234: D3B1407A 1802F51E
	v_pk_mul_f32 v[124:125], v[30:31], v[124:125]              // 00000000723C: D3B1407C 1802F91E
	v_pk_mul_f32 v[126:127], v[30:31], v[126:127]              // 000000007244: D3B1407E 1802FD1E
	v_pk_mul_f32 v[128:129], v[30:31], v[128:129]              // 00000000724C: D3B14080 1803011E
	v_pk_mul_f32 v[130:131], v[30:31], v[130:131]              // 000000007254: D3B14082 1803051E
	v_pk_mul_f32 v[132:133], v[30:31], v[132:133]              // 00000000725C: D3B14084 1803091E
	v_pk_mul_f32 v[134:135], v[30:31], v[134:135]              // 000000007264: D3B14086 18030D1E
	v_pk_mul_f32 v[136:137], v[30:31], v[136:137]              // 00000000726C: D3B14088 1803111E
	v_pk_mul_f32 v[138:139], v[30:31], v[138:139]              // 000000007274: D3B1408A 1803151E
	v_pk_mul_f32 v[140:141], v[30:31], v[140:141]              // 00000000727C: D3B1408C 1803191E
	v_pk_mul_f32 v[142:143], v[30:31], v[142:143]              // 000000007284: D3B1408E 18031D1E
	v_pk_mul_f32 v[144:145], v[30:31], v[144:145]              // 00000000728C: D3B14090 1803211E
	v_pk_mul_f32 v[146:147], v[30:31], v[146:147]              // 000000007294: D3B14092 1803251E
	v_pk_mul_f32 v[148:149], v[30:31], v[148:149]              // 00000000729C: D3B14094 1803291E
	v_pk_mul_f32 v[150:151], v[30:31], v[150:151]              // 0000000072A4: D3B14096 18032D1E
	v_pk_mul_f32 v[152:153], v[30:31], v[152:153]              // 0000000072AC: D3B14098 1803311E
	v_pk_mul_f32 v[154:155], v[30:31], v[154:155]              // 0000000072B4: D3B1409A 1803351E
	v_pk_mul_f32 v[156:157], v[30:31], v[156:157]              // 0000000072BC: D3B1409C 1803391E
	v_pk_mul_f32 v[158:159], v[30:31], v[158:159]              // 0000000072C4: D3B1409E 18033D1E
	v_pk_mul_f32 v[160:161], v[30:31], v[160:161]              // 0000000072CC: D3B140A0 1803411E
	v_pk_mul_f32 v[162:163], v[30:31], v[162:163]              // 0000000072D4: D3B140A2 1803451E
	v_pk_mul_f32 v[164:165], v[30:31], v[164:165]              // 0000000072DC: D3B140A4 1803491E
	v_pk_mul_f32 v[166:167], v[30:31], v[166:167]              // 0000000072E4: D3B140A6 18034D1E
	v_pk_mul_f32 v[168:169], v[30:31], v[168:169]              // 0000000072EC: D3B140A8 1803511E
	v_pk_mul_f32 v[170:171], v[30:31], v[170:171]              // 0000000072F4: D3B140AA 1803551E
	v_pk_mul_f32 v[172:173], v[30:31], v[172:173]              // 0000000072FC: D3B140AC 1803591E
	v_pk_mul_f32 v[174:175], v[30:31], v[174:175]              // 000000007304: D3B140AE 18035D1E
	v_pk_mul_f32 v[176:177], v[30:31], v[176:177]              // 00000000730C: D3B140B0 1803611E
	v_mfma_f32_16x16x32_bf16 v[46:49], a[140:143], a[68:71], v[46:49]// 000000007314: D3B5002E 1CBA898C
	s_addk_i32 s70, 0x1                                        // 00000000731C: B7460001
	s_cmp_lt_i32 s70, s71                                      // 000000007320: BF044746
	s_cbranch_scc0 label_3B3C                                  // 000000007324: BF84FB45
	s_waitcnt lgkmcnt(0)                                       // 000000007328: BF8CC07F
	v_mul_u32_u24_e64 v32, v24, s68                            // 00000000732C: D1080020 00008918
	v_add_u32_e32 v32, v32, v1                                 // 000000007334: 68400320
	v_mfma_f32_16x16x32_bf16 v[50:53], a[144:147], v[34:37], v[50:53]// 000000007338: D3B50032 0CCA4590
	v_mov_b32_e32 v29, v42                                     // 000000007340: 7E3A032A
	v_max3_f32 v29, v42, v43, v29                              // 000000007344: D1D3001D 0476572A
	v_mfma_f32_16x16x32_bf16 v[54:57], a[148:151], v[34:37], v[54:57]// 00000000734C: D3B50036 0CDA4594
	ds_read_b64_tr_b16 a[144:145], v8 offset:8192              // 000000007354: DBC62000 90000008
	ds_read_b64_tr_b16 a[146:147], v8 offset:8448              // 00000000735C: DBC62100 92000008
	v_mfma_f32_16x16x32_bf16 v[58:61], a[152:155], v[34:37], v[58:61]// 000000007364: D3B5003A 0CEA4598
	v_max3_f32 v29, v44, v45, v29                              // 00000000736C: D1D3001D 04765B2C
	v_max3_f32 v29, v46, v47, v29                              // 000000007374: D1D3001D 04765F2E
	v_mfma_f32_16x16x32_bf16 v[62:65], a[156:159], v[34:37], v[62:65]// 00000000737C: D3B5003E 0CFA459C
	ds_read_b64_tr_b16 a[148:149], v9 offset:8192              // 000000007384: DBC62000 94000009
	ds_read_b64_tr_b16 a[150:151], v9 offset:8448              // 00000000738C: DBC62100 96000009
	v_mfma_f32_16x16x32_bf16 v[66:69], a[160:163], v[34:37], v[66:69]// 000000007394: D3B50042 0D0A45A0
	v_max3_f32 v29, v48, v49, v29                              // 00000000739C: D1D3001D 04766330
	v_mov_b32_e32 v28, v29                                     // 0000000073A4: 7E38031D
	v_mfma_f32_16x16x32_bf16 v[70:73], a[164:167], v[34:37], v[70:73]// 0000000073A8: D3B50046 0D1A45A4
	ds_read_b64_tr_b16 a[152:153], v8 offset:9216              // 0000000073B0: DBC62400 98000008
	ds_read_b64_tr_b16 a[154:155], v8 offset:9472              // 0000000073B8: DBC62500 9A000008
	v_mfma_f32_16x16x32_bf16 v[74:77], a[168:171], v[34:37], v[74:77]// 0000000073C0: D3B5004A 0D2A45A8
	v_mov_b32_e32 v29, v29                                     // 0000000073C8: 7E3A031D
	s_nop 1                                                    // 0000000073CC: BF800001
	v_mfma_f32_16x16x32_bf16 v[78:81], a[172:175], v[34:37], v[78:81]// 0000000073D0: D3B5004E 0D3A45AC
	ds_read_b64_tr_b16 a[156:157], v9 offset:9216              // 0000000073D8: DBC62400 9C000009
	ds_read_b64_tr_b16 a[158:159], v9 offset:9472              // 0000000073E0: DBC62500 9E000009
	v_mfma_f32_16x16x32_bf16 v[82:85], a[176:179], v[34:37], v[82:85]// 0000000073E8: D3B50052 0D4A45B0
	v_permlane16_swap_b32_e32 v28, v29                         // 0000000073F0: 7E38B31D
	v_mfma_f32_16x16x32_bf16 v[86:89], a[180:183], v[34:37], v[86:89]// 0000000073F4: D3B50056 0D5A45B4
	ds_read_b64_tr_b16 a[160:161], v8 offset:10240             // 0000000073FC: DBC62800 A0000008
	ds_read_b64_tr_b16 a[162:163], v8 offset:10496             // 000000007404: DBC62900 A2000008
	v_mfma_f32_16x16x32_bf16 v[90:93], a[184:187], v[34:37], v[90:93]// 00000000740C: D3B5005A 0D6A45B8
	v_mov_b32_e32 v31, v28                                     // 000000007414: 7E3E031C
	v_mov_b32_e32 v30, v29                                     // 000000007418: 7E3C031D
	v_mfma_f32_16x16x32_bf16 v[94:97], a[188:191], v[34:37], v[94:97]// 00000000741C: D3B5005E 0D7A45BC
	ds_read_b64_tr_b16 a[164:165], v9 offset:10240             // 000000007424: DBC62800 A4000009
	ds_read_b64_tr_b16 a[166:167], v9 offset:10496             // 00000000742C: DBC62900 A6000009
	v_mfma_f32_16x16x32_bf16 v[98:101], a[192:195], v[34:37], v[98:101]// 000000007434: D3B50062 0D8A45C0
	s_nop 1                                                    // 00000000743C: BF800001
	v_permlane32_swap_b32_e32 v28, v29                         // 000000007440: 7E38B51D
	v_mfma_f32_16x16x32_bf16 v[102:105], a[196:199], v[34:37], v[102:105]// 000000007444: D3B50066 0D9A45C4
	ds_read_b64_tr_b16 a[168:169], v8 offset:11264             // 00000000744C: DBC62C00 A8000008
	ds_read_b64_tr_b16 a[170:171], v8 offset:11520             // 000000007454: DBC62D00 AA000008
	v_mfma_f32_16x16x32_bf16 v[106:109], a[200:203], v[34:37], v[106:109]// 00000000745C: D3B5006A 0DAA45C8
	v_permlane32_swap_b32_e32 v30, v31                         // 000000007464: 7E3CB51F
	v_mfma_f32_16x16x32_bf16 v[110:113], a[204:207], v[34:37], v[110:113]// 000000007468: D3B5006E 0DBA45CC
	ds_read_b64_tr_b16 a[172:173], v9 offset:11264             // 000000007470: DBC62C00 AC000009
	ds_read_b64_tr_b16 a[174:175], v9 offset:11520             // 000000007478: DBC62D00 AE000009
	ds_read_b64_tr_b16 a[176:177], v8 offset:12288             // 000000007480: DBC63000 B0000008
	ds_read_b64_tr_b16 a[178:179], v8 offset:12544             // 000000007488: DBC63100 B2000008
	ds_read_b64_tr_b16 a[180:181], v9 offset:12288             // 000000007490: DBC63000 B4000009
	ds_read_b64_tr_b16 a[182:183], v9 offset:12544             // 000000007498: DBC63100 B6000009
	ds_read_b64_tr_b16 a[184:185], v8 offset:13312             // 0000000074A0: DBC63400 B8000008
	ds_read_b64_tr_b16 a[186:187], v8 offset:13568             // 0000000074A8: DBC63500 BA000008
	ds_read_b64_tr_b16 a[188:189], v9 offset:13312             // 0000000074B0: DBC63400 BC000009
	ds_read_b64_tr_b16 a[190:191], v9 offset:13568             // 0000000074B8: DBC63500 BE000009
	s_waitcnt lgkmcnt(0)                                       // 0000000074C0: BF8CC07F
	v_mfma_f32_16x16x32_bf16 v[114:117], a[144:147], v[34:37], v[114:117]// 0000000074C4: D3B50072 0DCA4590
	ds_read_b64_tr_b16 a[192:193], v8 offset:14336             // 0000000074CC: DBC63800 C0000008
	ds_read_b64_tr_b16 a[194:195], v8 offset:14592             // 0000000074D4: DBC63900 C2000008
	v_mfma_f32_16x16x32_bf16 v[118:121], a[148:151], v[34:37], v[118:121]// 0000000074DC: D3B50076 0DDA4594
	s_waitcnt vmcnt(10)                                        // 0000000074E4: BF8C0F7A
	s_barrier                                                  // 0000000074E8: BF8A0000
	ds_read_b128 a[72:75], v20                                 // 0000000074EC: DBFE0000 48000014
	ds_read_b128 a[76:79], v20 offset:1024                     // 0000000074F4: DBFE0400 4C000014
	v_mfma_f32_16x16x32_bf16 v[122:125], a[152:155], v[34:37], v[122:125]// 0000000074FC: D3B5007A 0DEA4598
	ds_read_b64_tr_b16 a[196:197], v9 offset:14336             // 000000007504: DBC63800 C4000009
	ds_read_b64_tr_b16 a[198:199], v9 offset:14592             // 00000000750C: DBC63900 C6000009
	v_mfma_f32_16x16x32_bf16 v[126:129], a[156:159], v[34:37], v[126:129]// 000000007514: D3B5007E 0DFA459C
	ds_read_b128 a[80:83], v20 offset:2048                     // 00000000751C: DBFE0800 50000014
	ds_read_b128 a[84:87], v20 offset:3072                     // 000000007524: DBFE0C00 54000014
	v_mfma_f32_16x16x32_bf16 v[130:133], a[160:163], v[34:37], v[130:133]// 00000000752C: D3B50082 0E0A45A0
	ds_read_b64_tr_b16 a[200:201], v8 offset:15360             // 000000007534: DBC63C00 C8000008
	ds_read_b64_tr_b16 a[202:203], v8 offset:15616             // 00000000753C: DBC63D00 CA000008
	v_mfma_f32_16x16x32_bf16 v[134:137], a[164:167], v[34:37], v[134:137]// 000000007544: D3B50086 0E1A45A4
	ds_read_b128 a[88:91], v20 offset:4096                     // 00000000754C: DBFE1000 58000014
	ds_read_b128 a[92:95], v20 offset:5120                     // 000000007554: DBFE1400 5C000014
	v_mfma_f32_16x16x32_bf16 v[138:141], a[168:171], v[34:37], v[138:141]// 00000000755C: D3B5008A 0E2A45A8
	ds_read_b64_tr_b16 a[204:205], v9 offset:15360             // 000000007564: DBC63C00 CC000009
	ds_read_b64_tr_b16 a[206:207], v9 offset:15616             // 00000000756C: DBC63D00 CE000009
	v_mfma_f32_16x16x32_bf16 v[142:145], a[172:175], v[34:37], v[142:145]// 000000007574: D3B5008E 0E3A45AC
	ds_read_b128 a[96:99], v20 offset:6144                     // 00000000757C: DBFE1800 60000014
	ds_read_b128 a[100:103], v20 offset:7168                   // 000000007584: DBFE1C00 64000014
	v_mfma_f32_16x16x32_bf16 v[146:149], a[176:179], v[34:37], v[146:149]// 00000000758C: D3B50092 0E4A45B0
	v_max3_f32 v29, v28, v29, v29                              // 000000007594: D1D3001D 04763B1C
	v_max3_f32 v29, v30, v31, v29                              // 00000000759C: D1D3001D 04763F1E
	v_mfma_f32_16x16x32_bf16 v[150:153], a[180:183], v[34:37], v[150:153]// 0000000075A4: D3B50096 0E5A45B4
	ds_read_b128 a[104:107], v20 offset:8192                   // 0000000075AC: DBFE2000 68000014
	ds_read_b128 a[108:111], v20 offset:9216                   // 0000000075B4: DBFE2400 6C000014
	v_mfma_f32_16x16x32_bf16 v[154:157], a[184:187], v[34:37], v[154:157]// 0000000075BC: D3B5009A 0E6A45B8
	v_mov_b32_e32 v28, 0xff800000                              // 0000000075C4: 7E3802FF FF800000
	v_cmp_eq_u32_e64 s[36:37], v28, v2                         // 0000000075CC: D0CA0024 0002051C
	v_mfma_f32_16x16x32_bf16 v[158:161], a[188:191], v[34:37], v[158:161]// 0000000075D4: D3B5009E 0E7A45BC
	ds_read_b128 a[112:115], v20 offset:10240                  // 0000000075DC: DBFE2800 70000014
	ds_read_b128 a[116:119], v20 offset:11264                  // 0000000075E4: DBFE2C00 74000014
	v_mfma_f32_16x16x32_bf16 v[162:165], a[192:195], v[34:37], v[162:165]// 0000000075EC: D3B500A2 0E8A45C0
	v_max_f32_e32 v29, v29, v2                                 // 0000000075F4: 163A051D
	v_sub_f32_e32 v16, v2, v29                                 // 0000000075F8: 04203B02
	v_mfma_f32_16x16x32_bf16 v[166:169], a[196:199], v[34:37], v[166:169]// 0000000075FC: D3B500A6 0E9A45C4
	ds_read_b128 a[120:123], v20 offset:12288                  // 000000007604: DBFE3000 78000014
	ds_read_b128 a[124:127], v20 offset:13312                  // 00000000760C: DBFE3400 7C000014
	v_mfma_f32_16x16x32_bf16 v[170:173], a[200:203], v[34:37], v[170:173]// 000000007614: D3B500AA 0EAA45C8
	v_cndmask_b32_e64 v16, v16, 0, s[36:37]                    // 00000000761C: D1000010 00910110
	v_mov_b32_e32 v2, v29                                      // 000000007624: 7E04031D
	v_mfma_f32_16x16x32_bf16 v[174:177], a[204:207], v[34:37], v[174:177]// 000000007628: D3B500AE 0EBA45CC
	ds_read_b128 a[128:131], v20 offset:14336                  // 000000007630: DBFE3800 80000014
	ds_read_b128 a[132:135], v20 offset:15360                  // 000000007638: DBFE3C00 84000014
	ds_read_b128 a[136:139], v20 offset:16384                  // 000000007640: DBFE4000 88000014
	ds_read_b128 a[140:143], v20 offset:17408                  // 000000007648: DBFE4400 8C000014
	s_waitcnt lgkmcnt(0)                                       // 000000007650: BF8CC07F
	v_mfma_f32_16x16x32_bf16 v[34:37], a[72:75], a[0:3], 0     // 000000007654: D3B50022 1A020148
	buffer_load_dword v22, v26, s[24:27], 0 offen              // 00000000765C: E0501000 8006161A
	v_mul_f32_e32 v29, s5, v29                                 // 000000007664: 0A3A3A05
	s_mov_b32 s56, 0x2000                                      // 000000007668: BEB800FF 00002000
	s_mul_i32 s57, s7, 0x2400                                  // 000000007670: 9239FF07 00002400
	s_add_u32 m0, s56, s57                                     // 000000007678: 807C3938
	buffer_load_dwordx4 v32, s[20:23], 0 offen lds             // 00000000767C: E05D1000 80050020
	s_add_i32 m0, m0, 0x3c0                                    // 000000007684: 817CFF7C 000003C0
	v_mfma_f32_16x16x32_bf16 v[34:37], a[76:79], a[4:7], v[34:37]// 00000000768C: D3B50022 1C8A094C
	buffer_load_dwordx4 v32, s[20:23], 0 offen offset:64 lds   // 000000007694: E05D1040 80050020
	s_add_i32 m0, m0, 0x3c0                                    // 00000000769C: 817CFF7C 000003C0
	v_mfma_f32_16x16x32_bf16 v[34:37], a[80:83], a[8:11], v[34:37]// 0000000076A4: D3B50022 1C8A1150
	v_mul_f32_e32 v16, s5, v16                                 // 0000000076AC: 0A202005
	v_exp_f32_e32 v16, v16                                     // 0000000076B0: 7E204110
	v_mfma_f32_16x16x32_bf16 v[34:37], a[84:87], a[12:15], v[34:37]// 0000000076B4: D3B50022 1C8A1954
	v_add_u32_e32 v26, s73, v26                                // 0000000076BC: 68343449
	ds_read_b128 a[72:75], v20 offset:18432                    // 0000000076C0: DBFE4800 48000014
	ds_read_b128 a[76:79], v20 offset:19456                    // 0000000076C8: DBFE4C00 4C000014
	v_fma_f32 v42, v42, s5, -v29                               // 0000000076D0: D1CB002A 84740B2A
	v_mfma_f32_16x16x32_bf16 v[34:37], a[88:91], a[16:19], v[34:37]// 0000000076D8: D3B50022 1C8A2158
	ds_read_b128 a[80:83], v20 offset:20480                    // 0000000076E0: DBFE5000 50000014
	ds_read_b128 a[84:87], v20 offset:21504                    // 0000000076E8: DBFE5400 54000014
	v_fma_f32 v43, v43, s5, -v29                               // 0000000076F0: D1CB002B 84740B2B
	v_mfma_f32_16x16x32_bf16 v[34:37], a[92:95], a[20:23], v[34:37]// 0000000076F8: D3B50022 1C8A295C
	buffer_load_dwordx4 v32, s[20:23], 0 offen offset:128 lds  // 000000007700: E05D1080 80050020
	s_add_i32 m0, m0, 0x3c0                                    // 000000007708: 817CFF7C 000003C0
	v_mfma_f32_16x16x32_bf16 v[34:37], a[96:99], a[24:27], v[34:37]// 000000007710: D3B50022 1C8A3160
	v_fma_f32 v44, v44, s5, -v29                               // 000000007718: D1CB002C 84740B2C
	v_fma_f32 v45, v45, s5, -v29                               // 000000007720: D1CB002D 84740B2D
	v_mfma_f32_16x16x32_bf16 v[34:37], a[100:103], a[28:31], v[34:37]// 000000007728: D3B50022 1C8A3964
	ds_read_b128 a[88:91], v20 offset:22528                    // 000000007730: DBFE5800 58000014
	ds_read_b128 a[92:95], v20 offset:23552                    // 000000007738: DBFE5C00 5C000014
	v_fma_f32 v46, v46, s5, -v29                               // 000000007740: D1CB002E 84740B2E
	v_mfma_f32_16x16x32_bf16 v[34:37], a[104:107], a[32:35], v[34:37]// 000000007748: D3B50022 1C8A4168
	ds_read_b128 a[96:99], v20 offset:24576                    // 000000007750: DBFE6000 60000014
	ds_read_b128 a[100:103], v20 offset:25600                  // 000000007758: DBFE6400 64000014
	v_fma_f32 v47, v47, s5, -v29                               // 000000007760: D1CB002F 84740B2F
	v_mfma_f32_16x16x32_bf16 v[34:37], a[108:111], a[36:39], v[34:37]// 000000007768: D3B50022 1C8A496C
	buffer_load_dwordx4 v32, s[20:23], 0 offen offset:192 lds  // 000000007770: E05D10C0 80050020
	s_add_i32 m0, m0, 0x3c0                                    // 000000007778: 817CFF7C 000003C0
	v_mfma_f32_16x16x32_bf16 v[34:37], a[112:115], a[40:43], v[34:37]// 000000007780: D3B50022 1C8A5170
	v_fma_f32 v48, v48, s5, -v29                               // 000000007788: D1CB0030 84740B30
	v_fma_f32 v49, v49, s5, -v29                               // 000000007790: D1CB0031 84740B31
	v_mfma_f32_16x16x32_bf16 v[34:37], a[116:119], a[44:47], v[34:37]// 000000007798: D3B50022 1C8A5974
	v_exp_f32_e32 v42, v42                                     // 0000000077A0: 7E54412A
	v_mfma_f32_16x16x32_bf16 v[34:37], a[120:123], a[48:51], v[34:37]// 0000000077A4: D3B50022 1C8A6178
	ds_read_b128 a[104:107], v20 offset:26624                  // 0000000077AC: DBFE6800 68000014
	ds_read_b128 a[108:111], v20 offset:27648                  // 0000000077B4: DBFE6C00 6C000014
	v_exp_f32_e32 v43, v43                                     // 0000000077BC: 7E56412B
	v_mfma_f32_16x16x32_bf16 v[34:37], a[124:127], a[52:55], v[34:37]// 0000000077C0: D3B50022 1C8A697C
	buffer_load_dwordx4 v32, s[20:23], 0 offen offset:256 lds  // 0000000077C8: E05D1100 80050020
	s_add_i32 m0, m0, 0x3c0                                    // 0000000077D0: 817CFF7C 000003C0
	v_mfma_f32_16x16x32_bf16 v[34:37], a[128:131], a[56:59], v[34:37]// 0000000077D8: D3B50022 1C8A7180
	v_exp_f32_e32 v44, v44                                     // 0000000077E0: 7E58412C
	v_mfma_f32_16x16x32_bf16 v[34:37], a[132:135], a[60:63], v[34:37]// 0000000077E4: D3B50022 1C8A7984
	ds_read_b128 a[112:115], v20 offset:28672                  // 0000000077EC: DBFE7000 70000014
	ds_read_b128 a[116:119], v20 offset:29696                  // 0000000077F4: DBFE7400 74000014
	v_exp_f32_e32 v45, v45                                     // 0000000077FC: 7E5A412D
	v_mfma_f32_16x16x32_bf16 v[34:37], a[136:139], a[64:67], v[34:37]// 000000007800: D3B50022 1C8A8188
	ds_read_b128 a[120:123], v20 offset:30720                  // 000000007808: DBFE7800 78000014
	ds_read_b128 a[124:127], v20 offset:31744                  // 000000007810: DBFE7C00 7C000014
	v_exp_f32_e32 v46, v46                                     // 000000007818: 7E5C412E
	v_mfma_f32_16x16x32_bf16 v[34:37], a[140:143], a[68:71], v[34:37]// 00000000781C: D3B50022 1C8A898C
	ds_read_b128 a[128:131], v20 offset:32768                  // 000000007824: DBFE8000 80000014
	ds_read_b128 a[132:135], v20 offset:33792                  // 00000000782C: DBFE8400 84000014
	v_exp_f32_e32 v47, v47                                     // 000000007834: 7E5E412F
	ds_read_b128 a[136:139], v20 offset:34816                  // 000000007838: DBFE8800 88000014
	ds_read_b128 a[140:143], v20 offset:35840                  // 000000007840: DBFE8C00 8C000014
	v_exp_f32_e32 v48, v48                                     // 000000007848: 7E604130
	v_exp_f32_e32 v49, v49                                     // 00000000784C: 7E624131
	v_mul_f32_e32 v4, v16, v4                                  // 000000007850: 0A080910
	v_mov_b32_e32 v28, v42                                     // 000000007854: 7E38032A
	v_add_f32_e32 v28, v43, v28                                // 000000007858: 0238392B
	v_add_f32_e32 v28, v44, v28                                // 00000000785C: 0238392C
	v_add_f32_e32 v28, v45, v28                                // 000000007860: 0238392D
	v_add_f32_e32 v28, v46, v28                                // 000000007864: 0238392E
	v_add_f32_e32 v28, v47, v28                                // 000000007868: 0238392F
	v_add_f32_e32 v28, v48, v28                                // 00000000786C: 02383930
	v_add_f32_e32 v28, v49, v28                                // 000000007870: 02383931
	v_add_f32_e32 v4, v28, v4                                  // 000000007874: 0208091C
	v_cvt_pk_bf16_f32 v42, v42, v43                            // 000000007878: D268002A 0002572A
	v_cvt_pk_bf16_f32 v43, v44, v45                            // 000000007880: D268002B 00025B2C
	v_cvt_pk_bf16_f32 v44, v46, v47                            // 000000007888: D268002C 00025F2E
	v_cvt_pk_bf16_f32 v45, v48, v49                            // 000000007890: D268002D 00026330
	s_nop 0                                                    // 000000007898: BF800000
	v_permlane32_swap_b32_e32 v42, v44                         // 00000000789C: 7E54B52C
	v_permlane32_swap_b32_e32 v43, v45                         // 0000000078A0: 7E56B52D
	s_nop 0                                                    // 0000000078A4: BF800000
	v_permlane16_swap_b32_e32 v42, v44                         // 0000000078A8: 7E54B32C
	v_permlane16_swap_b32_e32 v43, v45                         // 0000000078AC: 7E56B32D
	s_waitcnt lgkmcnt(0)                                       // 0000000078B0: BF8CC07F
	v_mfma_f32_16x16x32_bf16 v[38:41], a[72:75], a[0:3], 0     // 0000000078B4: D3B50026 1A020148
	v_mul_f32_e32 v50, v16, v50                                // 0000000078BC: 0A646510
	v_mul_f32_e32 v51, v16, v51                                // 0000000078C0: 0A666710
	ds_read_b64_tr_b16 a[144:145], v10                         // 0000000078C4: DBC60000 9000000A
	ds_read_b64_tr_b16 a[146:147], v10 offset:256              // 0000000078CC: DBC60100 9200000A
	v_mfma_f32_16x16x32_bf16 v[38:41], a[76:79], a[4:7], v[38:41]// 0000000078D4: D3B50026 1C9A094C
	buffer_load_dwordx4 v32, s[20:23], 0 offen offset:320 lds  // 0000000078DC: E05D1140 80050020
	s_add_i32 m0, m0, 0x3c0                                    // 0000000078E4: 817CFF7C 000003C0
	v_mul_f32_e32 v52, v16, v52                                // 0000000078EC: 0A686910
	v_mul_f32_e32 v53, v16, v53                                // 0000000078F0: 0A6A6B10
	v_mfma_f32_16x16x32_bf16 v[38:41], a[80:83], a[8:11], v[38:41]// 0000000078F4: D3B50026 1C9A1150
	v_mul_f32_e32 v54, v16, v54                                // 0000000078FC: 0A6C6D10
	v_mul_f32_e32 v55, v16, v55                                // 000000007900: 0A6E6F10
	ds_read_b64_tr_b16 a[148:149], v11                         // 000000007904: DBC60000 9400000B
	ds_read_b64_tr_b16 a[150:151], v11 offset:256              // 00000000790C: DBC60100 9600000B
	v_mfma_f32_16x16x32_bf16 v[38:41], a[84:87], a[12:15], v[38:41]// 000000007914: D3B50026 1C9A1954
	v_mul_f32_e32 v56, v16, v56                                // 00000000791C: 0A707110
	v_mul_f32_e32 v57, v16, v57                                // 000000007920: 0A727310
	ds_read_b64_tr_b16 a[152:153], v10 offset:1024             // 000000007924: DBC60400 9800000A
	ds_read_b64_tr_b16 a[154:155], v10 offset:1280             // 00000000792C: DBC60500 9A00000A
	v_mfma_f32_16x16x32_bf16 v[38:41], a[88:91], a[16:19], v[38:41]// 000000007934: D3B50026 1C9A2158
	v_mul_f32_e32 v58, v16, v58                                // 00000000793C: 0A747510
	v_mul_f32_e32 v59, v16, v59                                // 000000007940: 0A767710
	ds_read_b64_tr_b16 a[156:157], v11 offset:1024             // 000000007944: DBC60400 9C00000B
	ds_read_b64_tr_b16 a[158:159], v11 offset:1280             // 00000000794C: DBC60500 9E00000B
	v_mfma_f32_16x16x32_bf16 v[38:41], a[92:95], a[20:23], v[38:41]// 000000007954: D3B50026 1C9A295C
	v_mul_f32_e32 v60, v16, v60                                // 00000000795C: 0A787910
	v_mul_f32_e32 v61, v16, v61                                // 000000007960: 0A7A7B10
	ds_read_b64_tr_b16 a[160:161], v10 offset:2048             // 000000007964: DBC60800 A000000A
	ds_read_b64_tr_b16 a[162:163], v10 offset:2304             // 00000000796C: DBC60900 A200000A
	v_mfma_f32_16x16x32_bf16 v[38:41], a[96:99], a[24:27], v[38:41]// 000000007974: D3B50026 1C9A3160
	v_mul_f32_e32 v62, v16, v62                                // 00000000797C: 0A7C7D10
	v_mul_f32_e32 v63, v16, v63                                // 000000007980: 0A7E7F10
	ds_read_b64_tr_b16 a[164:165], v11 offset:2048             // 000000007984: DBC60800 A400000B
	ds_read_b64_tr_b16 a[166:167], v11 offset:2304             // 00000000798C: DBC60900 A600000B
	v_mfma_f32_16x16x32_bf16 v[38:41], a[100:103], a[28:31], v[38:41]// 000000007994: D3B50026 1C9A3964
	buffer_load_dwordx4 v32, s[20:23], 0 offen offset:384 lds  // 00000000799C: E05D1180 80050020
	s_add_i32 m0, m0, 0x3c0                                    // 0000000079A4: 817CFF7C 000003C0
	v_mfma_f32_16x16x32_bf16 v[38:41], a[104:107], a[32:35], v[38:41]// 0000000079AC: D3B50026 1C9A4168
	v_mul_f32_e32 v64, v16, v64                                // 0000000079B4: 0A808110
	v_mul_f32_e32 v65, v16, v65                                // 0000000079B8: 0A828310
	ds_read_b64_tr_b16 a[168:169], v10 offset:3072             // 0000000079BC: DBC60C00 A800000A
	ds_read_b64_tr_b16 a[170:171], v10 offset:3328             // 0000000079C4: DBC60D00 AA00000A
	v_mfma_f32_16x16x32_bf16 v[38:41], a[108:111], a[36:39], v[38:41]// 0000000079CC: D3B50026 1C9A496C
	v_mul_f32_e32 v66, v16, v66                                // 0000000079D4: 0A848510
	v_mul_f32_e32 v67, v16, v67                                // 0000000079D8: 0A868710
	ds_read_b64_tr_b16 a[172:173], v11 offset:3072             // 0000000079DC: DBC60C00 AC00000B
	ds_read_b64_tr_b16 a[174:175], v11 offset:3328             // 0000000079E4: DBC60D00 AE00000B
	v_mfma_f32_16x16x32_bf16 v[38:41], a[112:115], a[40:43], v[38:41]// 0000000079EC: D3B50026 1C9A5170
	v_mul_f32_e32 v68, v16, v68                                // 0000000079F4: 0A888910
	v_mul_f32_e32 v69, v16, v69                                // 0000000079F8: 0A8A8B10
	ds_read_b64_tr_b16 a[176:177], v10 offset:4096             // 0000000079FC: DBC61000 B000000A
	ds_read_b64_tr_b16 a[178:179], v10 offset:4352             // 000000007A04: DBC61100 B200000A
	v_mfma_f32_16x16x32_bf16 v[38:41], a[116:119], a[44:47], v[38:41]// 000000007A0C: D3B50026 1C9A5974
	buffer_load_dwordx4 v32, s[20:23], 0 offen offset:448 lds  // 000000007A14: E05D11C0 80050020
	s_add_i32 m0, m0, 0x3c0                                    // 000000007A1C: 817CFF7C 000003C0
	v_mul_f32_e32 v70, v16, v70                                // 000000007A24: 0A8C8D10
	v_mul_f32_e32 v71, v16, v71                                // 000000007A28: 0A8E8F10
	v_mfma_f32_16x16x32_bf16 v[38:41], a[120:123], a[48:51], v[38:41]// 000000007A2C: D3B50026 1C9A6178
	v_mul_f32_e32 v72, v16, v72                                // 000000007A34: 0A909110
	v_mul_f32_e32 v73, v16, v73                                // 000000007A38: 0A929310
	ds_read_b64_tr_b16 a[180:181], v11 offset:4096             // 000000007A3C: DBC61000 B400000B
	ds_read_b64_tr_b16 a[182:183], v11 offset:4352             // 000000007A44: DBC61100 B600000B
	v_mfma_f32_16x16x32_bf16 v[38:41], a[124:127], a[52:55], v[38:41]// 000000007A4C: D3B50026 1C9A697C
	v_mul_f32_e32 v74, v16, v74                                // 000000007A54: 0A949510
	v_mul_f32_e32 v75, v16, v75                                // 000000007A58: 0A969710
	ds_read_b64_tr_b16 a[184:185], v10 offset:5120             // 000000007A5C: DBC61400 B800000A
	ds_read_b64_tr_b16 a[186:187], v10 offset:5376             // 000000007A64: DBC61500 BA00000A
	v_mfma_f32_16x16x32_bf16 v[38:41], a[128:131], a[56:59], v[38:41]// 000000007A6C: D3B50026 1C9A7180
	v_mul_f32_e32 v76, v16, v76                                // 000000007A74: 0A989910
	v_mul_f32_e32 v77, v16, v77                                // 000000007A78: 0A9A9B10
	ds_read_b64_tr_b16 a[188:189], v11 offset:5120             // 000000007A7C: DBC61400 BC00000B
	ds_read_b64_tr_b16 a[190:191], v11 offset:5376             // 000000007A84: DBC61500 BE00000B
	v_mfma_f32_16x16x32_bf16 v[38:41], a[132:135], a[60:63], v[38:41]// 000000007A8C: D3B50026 1C9A7984
	buffer_load_dwordx4 v32, s[20:23], 0 offen offset:512 lds  // 000000007A94: E05D1200 80050020
	s_add_i32 m0, m0, 0x3c0                                    // 000000007A9C: 817CFF7C 000003C0
	v_mfma_f32_16x16x32_bf16 v[38:41], a[136:139], a[64:67], v[38:41]// 000000007AA4: D3B50026 1C9A8188
	v_mul_f32_e32 v78, v16, v78                                // 000000007AAC: 0A9C9D10
	v_mul_f32_e32 v79, v16, v79                                // 000000007AB0: 0A9E9F10
	ds_read_b64_tr_b16 a[192:193], v10 offset:6144             // 000000007AB4: DBC61800 C000000A
	ds_read_b64_tr_b16 a[194:195], v10 offset:6400             // 000000007ABC: DBC61900 C200000A
	ds_read_b64_tr_b16 a[196:197], v11 offset:6144             // 000000007AC4: DBC61800 C400000B
	ds_read_b64_tr_b16 a[198:199], v11 offset:6400             // 000000007ACC: DBC61900 C600000B
	ds_read_b64_tr_b16 a[200:201], v10 offset:7168             // 000000007AD4: DBC61C00 C800000A
	ds_read_b64_tr_b16 a[202:203], v10 offset:7424             // 000000007ADC: DBC61D00 CA00000A
	ds_read_b64_tr_b16 a[204:205], v11 offset:7168             // 000000007AE4: DBC61C00 CC00000B
	ds_read_b64_tr_b16 a[206:207], v11 offset:7424             // 000000007AEC: DBC61D00 CE00000B
	v_mov_b32_e32 v30, v16                                     // 000000007AF4: 7E3C0310
	v_mov_b32_e32 v31, v16                                     // 000000007AF8: 7E3E0310
	v_pk_mul_f32 v[80:81], v[30:31], v[80:81]                  // 000000007AFC: D3B14050 1802A11E
	v_pk_mul_f32 v[82:83], v[30:31], v[82:83]                  // 000000007B04: D3B14052 1802A51E
	v_pk_mul_f32 v[84:85], v[30:31], v[84:85]                  // 000000007B0C: D3B14054 1802A91E
	v_pk_mul_f32 v[86:87], v[30:31], v[86:87]                  // 000000007B14: D3B14056 1802AD1E
	v_pk_mul_f32 v[88:89], v[30:31], v[88:89]                  // 000000007B1C: D3B14058 1802B11E
	v_pk_mul_f32 v[90:91], v[30:31], v[90:91]                  // 000000007B24: D3B1405A 1802B51E
	v_pk_mul_f32 v[92:93], v[30:31], v[92:93]                  // 000000007B2C: D3B1405C 1802B91E
	v_pk_mul_f32 v[94:95], v[30:31], v[94:95]                  // 000000007B34: D3B1405E 1802BD1E
	v_pk_mul_f32 v[96:97], v[30:31], v[96:97]                  // 000000007B3C: D3B14060 1802C11E
	v_pk_mul_f32 v[98:99], v[30:31], v[98:99]                  // 000000007B44: D3B14062 1802C51E
	v_pk_mul_f32 v[100:101], v[30:31], v[100:101]              // 000000007B4C: D3B14064 1802C91E
	v_pk_mul_f32 v[102:103], v[30:31], v[102:103]              // 000000007B54: D3B14066 1802CD1E
	v_pk_mul_f32 v[104:105], v[30:31], v[104:105]              // 000000007B5C: D3B14068 1802D11E
	v_pk_mul_f32 v[106:107], v[30:31], v[106:107]              // 000000007B64: D3B1406A 1802D51E
	v_pk_mul_f32 v[108:109], v[30:31], v[108:109]              // 000000007B6C: D3B1406C 1802D91E
	v_pk_mul_f32 v[110:111], v[30:31], v[110:111]              // 000000007B74: D3B1406E 1802DD1E
	v_pk_mul_f32 v[112:113], v[30:31], v[112:113]              // 000000007B7C: D3B14070 1802E11E
	v_pk_mul_f32 v[114:115], v[30:31], v[114:115]              // 000000007B84: D3B14072 1802E51E
	v_pk_mul_f32 v[116:117], v[30:31], v[116:117]              // 000000007B8C: D3B14074 1802E91E
	v_pk_mul_f32 v[118:119], v[30:31], v[118:119]              // 000000007B94: D3B14076 1802ED1E
	v_pk_mul_f32 v[120:121], v[30:31], v[120:121]              // 000000007B9C: D3B14078 1802F11E
	v_pk_mul_f32 v[122:123], v[30:31], v[122:123]              // 000000007BA4: D3B1407A 1802F51E
	v_pk_mul_f32 v[124:125], v[30:31], v[124:125]              // 000000007BAC: D3B1407C 1802F91E
	v_pk_mul_f32 v[126:127], v[30:31], v[126:127]              // 000000007BB4: D3B1407E 1802FD1E
	v_pk_mul_f32 v[128:129], v[30:31], v[128:129]              // 000000007BBC: D3B14080 1803011E
	v_pk_mul_f32 v[130:131], v[30:31], v[130:131]              // 000000007BC4: D3B14082 1803051E
	v_pk_mul_f32 v[132:133], v[30:31], v[132:133]              // 000000007BCC: D3B14084 1803091E
	v_pk_mul_f32 v[134:135], v[30:31], v[134:135]              // 000000007BD4: D3B14086 18030D1E
	v_pk_mul_f32 v[136:137], v[30:31], v[136:137]              // 000000007BDC: D3B14088 1803111E
	v_pk_mul_f32 v[138:139], v[30:31], v[138:139]              // 000000007BE4: D3B1408A 1803151E
	v_pk_mul_f32 v[140:141], v[30:31], v[140:141]              // 000000007BEC: D3B1408C 1803191E
	v_pk_mul_f32 v[142:143], v[30:31], v[142:143]              // 000000007BF4: D3B1408E 18031D1E
	v_pk_mul_f32 v[144:145], v[30:31], v[144:145]              // 000000007BFC: D3B14090 1803211E
	v_pk_mul_f32 v[146:147], v[30:31], v[146:147]              // 000000007C04: D3B14092 1803251E
	v_pk_mul_f32 v[148:149], v[30:31], v[148:149]              // 000000007C0C: D3B14094 1803291E
	v_pk_mul_f32 v[150:151], v[30:31], v[150:151]              // 000000007C14: D3B14096 18032D1E
	v_pk_mul_f32 v[152:153], v[30:31], v[152:153]              // 000000007C1C: D3B14098 1803311E
	v_pk_mul_f32 v[154:155], v[30:31], v[154:155]              // 000000007C24: D3B1409A 1803351E
	v_pk_mul_f32 v[156:157], v[30:31], v[156:157]              // 000000007C2C: D3B1409C 1803391E
	v_pk_mul_f32 v[158:159], v[30:31], v[158:159]              // 000000007C34: D3B1409E 18033D1E
	v_pk_mul_f32 v[160:161], v[30:31], v[160:161]              // 000000007C3C: D3B140A0 1803411E
	v_pk_mul_f32 v[162:163], v[30:31], v[162:163]              // 000000007C44: D3B140A2 1803451E
	v_pk_mul_f32 v[164:165], v[30:31], v[164:165]              // 000000007C4C: D3B140A4 1803491E
	v_pk_mul_f32 v[166:167], v[30:31], v[166:167]              // 000000007C54: D3B140A6 18034D1E
	v_pk_mul_f32 v[168:169], v[30:31], v[168:169]              // 000000007C5C: D3B140A8 1803511E
	v_pk_mul_f32 v[170:171], v[30:31], v[170:171]              // 000000007C64: D3B140AA 1803551E
	v_pk_mul_f32 v[172:173], v[30:31], v[172:173]              // 000000007C6C: D3B140AC 1803591E
	v_pk_mul_f32 v[174:175], v[30:31], v[174:175]              // 000000007C74: D3B140AE 18035D1E
	v_pk_mul_f32 v[176:177], v[30:31], v[176:177]              // 000000007C7C: D3B140B0 1803611E
	v_mfma_f32_16x16x32_bf16 v[38:41], a[140:143], a[68:71], v[38:41]// 000000007C84: D3B50026 1C9A898C
	s_addk_i32 s70, 0x1                                        // 000000007C8C: B7460001
	s_cmp_lt_i32 s70, s71                                      // 000000007C90: BF044746
	s_cbranch_scc0 label_3B3C                                  // 000000007C94: BF84F8E9
	s_waitcnt lgkmcnt(0)                                       // 000000007C98: BF8CC07F
	v_mul_u32_u24_e64 v32, v25, s68                            // 000000007C9C: D1080020 00008919
	v_add_u32_e32 v32, v32, v1                                 // 000000007CA4: 68400320
	v_mfma_f32_16x16x32_bf16 v[50:53], a[144:147], v[42:45], v[50:53]// 000000007CA8: D3B50032 0CCA5590
	v_mov_b32_e32 v29, v34                                     // 000000007CB0: 7E3A0322
	v_max3_f32 v29, v34, v35, v29                              // 000000007CB4: D1D3001D 04764722
	v_mfma_f32_16x16x32_bf16 v[54:57], a[148:151], v[42:45], v[54:57]// 000000007CBC: D3B50036 0CDA5594
	ds_read_b64_tr_b16 a[144:145], v10 offset:8192             // 000000007CC4: DBC62000 9000000A
	ds_read_b64_tr_b16 a[146:147], v10 offset:8448             // 000000007CCC: DBC62100 9200000A
	v_mfma_f32_16x16x32_bf16 v[58:61], a[152:155], v[42:45], v[58:61]// 000000007CD4: D3B5003A 0CEA5598
	v_max3_f32 v29, v36, v37, v29                              // 000000007CDC: D1D3001D 04764B24
	v_max3_f32 v29, v38, v39, v29                              // 000000007CE4: D1D3001D 04764F26
	v_mfma_f32_16x16x32_bf16 v[62:65], a[156:159], v[42:45], v[62:65]// 000000007CEC: D3B5003E 0CFA559C
	ds_read_b64_tr_b16 a[148:149], v11 offset:8192             // 000000007CF4: DBC62000 9400000B
	ds_read_b64_tr_b16 a[150:151], v11 offset:8448             // 000000007CFC: DBC62100 9600000B
	v_mfma_f32_16x16x32_bf16 v[66:69], a[160:163], v[42:45], v[66:69]// 000000007D04: D3B50042 0D0A55A0
	v_max3_f32 v29, v40, v41, v29                              // 000000007D0C: D1D3001D 04765328
	v_mov_b32_e32 v28, v29                                     // 000000007D14: 7E38031D
	v_mfma_f32_16x16x32_bf16 v[70:73], a[164:167], v[42:45], v[70:73]// 000000007D18: D3B50046 0D1A55A4
	ds_read_b64_tr_b16 a[152:153], v10 offset:9216             // 000000007D20: DBC62400 9800000A
	ds_read_b64_tr_b16 a[154:155], v10 offset:9472             // 000000007D28: DBC62500 9A00000A
	v_mfma_f32_16x16x32_bf16 v[74:77], a[168:171], v[42:45], v[74:77]// 000000007D30: D3B5004A 0D2A55A8
	v_mov_b32_e32 v29, v29                                     // 000000007D38: 7E3A031D
	s_nop 1                                                    // 000000007D3C: BF800001
	v_mfma_f32_16x16x32_bf16 v[78:81], a[172:175], v[42:45], v[78:81]// 000000007D40: D3B5004E 0D3A55AC
	ds_read_b64_tr_b16 a[156:157], v11 offset:9216             // 000000007D48: DBC62400 9C00000B
	ds_read_b64_tr_b16 a[158:159], v11 offset:9472             // 000000007D50: DBC62500 9E00000B
	v_mfma_f32_16x16x32_bf16 v[82:85], a[176:179], v[42:45], v[82:85]// 000000007D58: D3B50052 0D4A55B0
	v_permlane16_swap_b32_e32 v28, v29                         // 000000007D60: 7E38B31D
	v_mfma_f32_16x16x32_bf16 v[86:89], a[180:183], v[42:45], v[86:89]// 000000007D64: D3B50056 0D5A55B4
	ds_read_b64_tr_b16 a[160:161], v10 offset:10240            // 000000007D6C: DBC62800 A000000A
	ds_read_b64_tr_b16 a[162:163], v10 offset:10496            // 000000007D74: DBC62900 A200000A
	v_mfma_f32_16x16x32_bf16 v[90:93], a[184:187], v[42:45], v[90:93]// 000000007D7C: D3B5005A 0D6A55B8
	v_mov_b32_e32 v31, v28                                     // 000000007D84: 7E3E031C
	v_mov_b32_e32 v30, v29                                     // 000000007D88: 7E3C031D
	v_mfma_f32_16x16x32_bf16 v[94:97], a[188:191], v[42:45], v[94:97]// 000000007D8C: D3B5005E 0D7A55BC
	ds_read_b64_tr_b16 a[164:165], v11 offset:10240            // 000000007D94: DBC62800 A400000B
	ds_read_b64_tr_b16 a[166:167], v11 offset:10496            // 000000007D9C: DBC62900 A600000B
	v_mfma_f32_16x16x32_bf16 v[98:101], a[192:195], v[42:45], v[98:101]// 000000007DA4: D3B50062 0D8A55C0
	s_nop 1                                                    // 000000007DAC: BF800001
	v_permlane32_swap_b32_e32 v28, v29                         // 000000007DB0: 7E38B51D
	v_mfma_f32_16x16x32_bf16 v[102:105], a[196:199], v[42:45], v[102:105]// 000000007DB4: D3B50066 0D9A55C4
	ds_read_b64_tr_b16 a[168:169], v10 offset:11264            // 000000007DBC: DBC62C00 A800000A
	ds_read_b64_tr_b16 a[170:171], v10 offset:11520            // 000000007DC4: DBC62D00 AA00000A
	v_mfma_f32_16x16x32_bf16 v[106:109], a[200:203], v[42:45], v[106:109]// 000000007DCC: D3B5006A 0DAA55C8
	v_permlane32_swap_b32_e32 v30, v31                         // 000000007DD4: 7E3CB51F
	v_mfma_f32_16x16x32_bf16 v[110:113], a[204:207], v[42:45], v[110:113]// 000000007DD8: D3B5006E 0DBA55CC
	ds_read_b64_tr_b16 a[172:173], v11 offset:11264            // 000000007DE0: DBC62C00 AC00000B
	ds_read_b64_tr_b16 a[174:175], v11 offset:11520            // 000000007DE8: DBC62D00 AE00000B
	ds_read_b64_tr_b16 a[176:177], v10 offset:12288            // 000000007DF0: DBC63000 B000000A
	ds_read_b64_tr_b16 a[178:179], v10 offset:12544            // 000000007DF8: DBC63100 B200000A
	ds_read_b64_tr_b16 a[180:181], v11 offset:12288            // 000000007E00: DBC63000 B400000B
	ds_read_b64_tr_b16 a[182:183], v11 offset:12544            // 000000007E08: DBC63100 B600000B
	ds_read_b64_tr_b16 a[184:185], v10 offset:13312            // 000000007E10: DBC63400 B800000A
	ds_read_b64_tr_b16 a[186:187], v10 offset:13568            // 000000007E18: DBC63500 BA00000A
	ds_read_b64_tr_b16 a[188:189], v11 offset:13312            // 000000007E20: DBC63400 BC00000B
	ds_read_b64_tr_b16 a[190:191], v11 offset:13568            // 000000007E28: DBC63500 BE00000B
	s_waitcnt lgkmcnt(0)                                       // 000000007E30: BF8CC07F
	v_mfma_f32_16x16x32_bf16 v[114:117], a[144:147], v[42:45], v[114:117]// 000000007E34: D3B50072 0DCA5590
	ds_read_b64_tr_b16 a[192:193], v10 offset:14336            // 000000007E3C: DBC63800 C000000A
	ds_read_b64_tr_b16 a[194:195], v10 offset:14592            // 000000007E44: DBC63900 C200000A
	v_mfma_f32_16x16x32_bf16 v[118:121], a[148:151], v[42:45], v[118:121]// 000000007E4C: D3B50076 0DDA5594
	s_waitcnt vmcnt(10)                                        // 000000007E54: BF8C0F7A
	s_barrier                                                  // 000000007E58: BF8A0000
	ds_read_b128 a[72:75], v21                                 // 000000007E5C: DBFE0000 48000015
	ds_read_b128 a[76:79], v21 offset:1024                     // 000000007E64: DBFE0400 4C000015
	v_mfma_f32_16x16x32_bf16 v[122:125], a[152:155], v[42:45], v[122:125]// 000000007E6C: D3B5007A 0DEA5598
	ds_read_b64_tr_b16 a[196:197], v11 offset:14336            // 000000007E74: DBC63800 C400000B
	ds_read_b64_tr_b16 a[198:199], v11 offset:14592            // 000000007E7C: DBC63900 C600000B
	v_mfma_f32_16x16x32_bf16 v[126:129], a[156:159], v[42:45], v[126:129]// 000000007E84: D3B5007E 0DFA559C
	ds_read_b128 a[80:83], v21 offset:2048                     // 000000007E8C: DBFE0800 50000015
	ds_read_b128 a[84:87], v21 offset:3072                     // 000000007E94: DBFE0C00 54000015
	v_mfma_f32_16x16x32_bf16 v[130:133], a[160:163], v[42:45], v[130:133]// 000000007E9C: D3B50082 0E0A55A0
	ds_read_b64_tr_b16 a[200:201], v10 offset:15360            // 000000007EA4: DBC63C00 C800000A
	ds_read_b64_tr_b16 a[202:203], v10 offset:15616            // 000000007EAC: DBC63D00 CA00000A
	v_mfma_f32_16x16x32_bf16 v[134:137], a[164:167], v[42:45], v[134:137]// 000000007EB4: D3B50086 0E1A55A4
	ds_read_b128 a[88:91], v21 offset:4096                     // 000000007EBC: DBFE1000 58000015
	ds_read_b128 a[92:95], v21 offset:5120                     // 000000007EC4: DBFE1400 5C000015
	v_mfma_f32_16x16x32_bf16 v[138:141], a[168:171], v[42:45], v[138:141]// 000000007ECC: D3B5008A 0E2A55A8
	ds_read_b64_tr_b16 a[204:205], v11 offset:15360            // 000000007ED4: DBC63C00 CC00000B
	ds_read_b64_tr_b16 a[206:207], v11 offset:15616            // 000000007EDC: DBC63D00 CE00000B
	v_mfma_f32_16x16x32_bf16 v[142:145], a[172:175], v[42:45], v[142:145]// 000000007EE4: D3B5008E 0E3A55AC
	ds_read_b128 a[96:99], v21 offset:6144                     // 000000007EEC: DBFE1800 60000015
	ds_read_b128 a[100:103], v21 offset:7168                   // 000000007EF4: DBFE1C00 64000015
	v_mfma_f32_16x16x32_bf16 v[146:149], a[176:179], v[42:45], v[146:149]// 000000007EFC: D3B50092 0E4A55B0
	v_max3_f32 v29, v28, v29, v29                              // 000000007F04: D1D3001D 04763B1C
	v_max3_f32 v29, v30, v31, v29                              // 000000007F0C: D1D3001D 04763F1E
	v_mfma_f32_16x16x32_bf16 v[150:153], a[180:183], v[42:45], v[150:153]// 000000007F14: D3B50096 0E5A55B4
	ds_read_b128 a[104:107], v21 offset:8192                   // 000000007F1C: DBFE2000 68000015
	ds_read_b128 a[108:111], v21 offset:9216                   // 000000007F24: DBFE2400 6C000015
	v_mfma_f32_16x16x32_bf16 v[154:157], a[184:187], v[42:45], v[154:157]// 000000007F2C: D3B5009A 0E6A55B8
	v_mov_b32_e32 v28, 0xff800000                              // 000000007F34: 7E3802FF FF800000
	v_cmp_eq_u32_e64 s[36:37], v28, v2                         // 000000007F3C: D0CA0024 0002051C
	v_mfma_f32_16x16x32_bf16 v[158:161], a[188:191], v[42:45], v[158:161]// 000000007F44: D3B5009E 0E7A55BC
	ds_read_b128 a[112:115], v21 offset:10240                  // 000000007F4C: DBFE2800 70000015
	ds_read_b128 a[116:119], v21 offset:11264                  // 000000007F54: DBFE2C00 74000015
	v_mfma_f32_16x16x32_bf16 v[162:165], a[192:195], v[42:45], v[162:165]// 000000007F5C: D3B500A2 0E8A55C0
	v_max_f32_e32 v29, v29, v2                                 // 000000007F64: 163A051D
	v_sub_f32_e32 v16, v2, v29                                 // 000000007F68: 04203B02
	v_mfma_f32_16x16x32_bf16 v[166:169], a[196:199], v[42:45], v[166:169]// 000000007F6C: D3B500A6 0E9A55C4
	ds_read_b128 a[120:123], v21 offset:12288                  // 000000007F74: DBFE3000 78000015
	ds_read_b128 a[124:127], v21 offset:13312                  // 000000007F7C: DBFE3400 7C000015
	v_mfma_f32_16x16x32_bf16 v[170:173], a[200:203], v[42:45], v[170:173]// 000000007F84: D3B500AA 0EAA55C8
	v_cndmask_b32_e64 v16, v16, 0, s[36:37]                    // 000000007F8C: D1000010 00910110
	v_mov_b32_e32 v2, v29                                      // 000000007F94: 7E04031D
	v_mfma_f32_16x16x32_bf16 v[174:177], a[204:207], v[42:45], v[174:177]// 000000007F98: D3B500AE 0EBA55CC
	ds_read_b128 a[128:131], v21 offset:14336                  // 000000007FA0: DBFE3800 80000015
	ds_read_b128 a[132:135], v21 offset:15360                  // 000000007FA8: DBFE3C00 84000015
	ds_read_b128 a[136:139], v21 offset:16384                  // 000000007FB0: DBFE4000 88000015
	ds_read_b128 a[140:143], v21 offset:17408                  // 000000007FB8: DBFE4400 8C000015
	s_waitcnt lgkmcnt(0)                                       // 000000007FC0: BF8CC07F
	v_mfma_f32_16x16x32_bf16 v[42:45], a[72:75], a[0:3], 0     // 000000007FC4: D3B5002A 1A020148
	buffer_load_dword v23, v26, s[24:27], 0 offen              // 000000007FCC: E0501000 8006171A
	v_mul_f32_e32 v29, s5, v29                                 // 000000007FD4: 0A3A3A05
	s_mov_b32 s56, 0xb000                                      // 000000007FD8: BEB800FF 0000B000
	s_mul_i32 s57, s7, 0x2400                                  // 000000007FE0: 9239FF07 00002400
	s_add_u32 m0, s56, s57                                     // 000000007FE8: 807C3938
	buffer_load_dwordx4 v32, s[20:23], 0 offen lds             // 000000007FEC: E05D1000 80050020
	s_add_i32 m0, m0, 0x3c0                                    // 000000007FF4: 817CFF7C 000003C0
	v_mfma_f32_16x16x32_bf16 v[42:45], a[76:79], a[4:7], v[42:45]// 000000007FFC: D3B5002A 1CAA094C
	buffer_load_dwordx4 v32, s[20:23], 0 offen offset:64 lds   // 000000008004: E05D1040 80050020
	s_add_i32 m0, m0, 0x3c0                                    // 00000000800C: 817CFF7C 000003C0
	v_mfma_f32_16x16x32_bf16 v[42:45], a[80:83], a[8:11], v[42:45]// 000000008014: D3B5002A 1CAA1150
	v_mul_f32_e32 v16, s5, v16                                 // 00000000801C: 0A202005
	v_exp_f32_e32 v16, v16                                     // 000000008020: 7E204110
	v_mfma_f32_16x16x32_bf16 v[42:45], a[84:87], a[12:15], v[42:45]// 000000008024: D3B5002A 1CAA1954
	v_add_u32_e32 v26, s73, v26                                // 00000000802C: 68343449
	ds_read_b128 a[72:75], v21 offset:18432                    // 000000008030: DBFE4800 48000015
	ds_read_b128 a[76:79], v21 offset:19456                    // 000000008038: DBFE4C00 4C000015
	v_fma_f32 v34, v34, s5, -v29                               // 000000008040: D1CB0022 84740B22
	v_mfma_f32_16x16x32_bf16 v[42:45], a[88:91], a[16:19], v[42:45]// 000000008048: D3B5002A 1CAA2158
	ds_read_b128 a[80:83], v21 offset:20480                    // 000000008050: DBFE5000 50000015
	ds_read_b128 a[84:87], v21 offset:21504                    // 000000008058: DBFE5400 54000015
	v_fma_f32 v35, v35, s5, -v29                               // 000000008060: D1CB0023 84740B23
	v_mfma_f32_16x16x32_bf16 v[42:45], a[92:95], a[20:23], v[42:45]// 000000008068: D3B5002A 1CAA295C
	buffer_load_dwordx4 v32, s[20:23], 0 offen offset:128 lds  // 000000008070: E05D1080 80050020
	s_add_i32 m0, m0, 0x3c0                                    // 000000008078: 817CFF7C 000003C0
	v_mfma_f32_16x16x32_bf16 v[42:45], a[96:99], a[24:27], v[42:45]// 000000008080: D3B5002A 1CAA3160
	v_fma_f32 v36, v36, s5, -v29                               // 000000008088: D1CB0024 84740B24
	v_fma_f32 v37, v37, s5, -v29                               // 000000008090: D1CB0025 84740B25
	v_mfma_f32_16x16x32_bf16 v[42:45], a[100:103], a[28:31], v[42:45]// 000000008098: D3B5002A 1CAA3964
	ds_read_b128 a[88:91], v21 offset:22528                    // 0000000080A0: DBFE5800 58000015
	ds_read_b128 a[92:95], v21 offset:23552                    // 0000000080A8: DBFE5C00 5C000015
	v_fma_f32 v38, v38, s5, -v29                               // 0000000080B0: D1CB0026 84740B26
	v_mfma_f32_16x16x32_bf16 v[42:45], a[104:107], a[32:35], v[42:45]// 0000000080B8: D3B5002A 1CAA4168
	ds_read_b128 a[96:99], v21 offset:24576                    // 0000000080C0: DBFE6000 60000015
	ds_read_b128 a[100:103], v21 offset:25600                  // 0000000080C8: DBFE6400 64000015
	v_fma_f32 v39, v39, s5, -v29                               // 0000000080D0: D1CB0027 84740B27
	v_mfma_f32_16x16x32_bf16 v[42:45], a[108:111], a[36:39], v[42:45]// 0000000080D8: D3B5002A 1CAA496C
	buffer_load_dwordx4 v32, s[20:23], 0 offen offset:192 lds  // 0000000080E0: E05D10C0 80050020
	s_add_i32 m0, m0, 0x3c0                                    // 0000000080E8: 817CFF7C 000003C0
	v_mfma_f32_16x16x32_bf16 v[42:45], a[112:115], a[40:43], v[42:45]// 0000000080F0: D3B5002A 1CAA5170
	v_fma_f32 v40, v40, s5, -v29                               // 0000000080F8: D1CB0028 84740B28
	v_fma_f32 v41, v41, s5, -v29                               // 000000008100: D1CB0029 84740B29
	v_mfma_f32_16x16x32_bf16 v[42:45], a[116:119], a[44:47], v[42:45]// 000000008108: D3B5002A 1CAA5974
	v_exp_f32_e32 v34, v34                                     // 000000008110: 7E444122
	v_mfma_f32_16x16x32_bf16 v[42:45], a[120:123], a[48:51], v[42:45]// 000000008114: D3B5002A 1CAA6178
	ds_read_b128 a[104:107], v21 offset:26624                  // 00000000811C: DBFE6800 68000015
	ds_read_b128 a[108:111], v21 offset:27648                  // 000000008124: DBFE6C00 6C000015
	v_exp_f32_e32 v35, v35                                     // 00000000812C: 7E464123
	v_mfma_f32_16x16x32_bf16 v[42:45], a[124:127], a[52:55], v[42:45]// 000000008130: D3B5002A 1CAA697C
	buffer_load_dwordx4 v32, s[20:23], 0 offen offset:256 lds  // 000000008138: E05D1100 80050020
	s_add_i32 m0, m0, 0x3c0                                    // 000000008140: 817CFF7C 000003C0
	v_mfma_f32_16x16x32_bf16 v[42:45], a[128:131], a[56:59], v[42:45]// 000000008148: D3B5002A 1CAA7180
	v_exp_f32_e32 v36, v36                                     // 000000008150: 7E484124
	v_mfma_f32_16x16x32_bf16 v[42:45], a[132:135], a[60:63], v[42:45]// 000000008154: D3B5002A 1CAA7984
	ds_read_b128 a[112:115], v21 offset:28672                  // 00000000815C: DBFE7000 70000015
	ds_read_b128 a[116:119], v21 offset:29696                  // 000000008164: DBFE7400 74000015
	v_exp_f32_e32 v37, v37                                     // 00000000816C: 7E4A4125
	v_mfma_f32_16x16x32_bf16 v[42:45], a[136:139], a[64:67], v[42:45]// 000000008170: D3B5002A 1CAA8188
	ds_read_b128 a[120:123], v21 offset:30720                  // 000000008178: DBFE7800 78000015
	ds_read_b128 a[124:127], v21 offset:31744                  // 000000008180: DBFE7C00 7C000015
	v_exp_f32_e32 v38, v38                                     // 000000008188: 7E4C4126
	v_mfma_f32_16x16x32_bf16 v[42:45], a[140:143], a[68:71], v[42:45]// 00000000818C: D3B5002A 1CAA898C
	ds_read_b128 a[128:131], v21 offset:32768                  // 000000008194: DBFE8000 80000015
	ds_read_b128 a[132:135], v21 offset:33792                  // 00000000819C: DBFE8400 84000015
	v_exp_f32_e32 v39, v39                                     // 0000000081A4: 7E4E4127
	ds_read_b128 a[136:139], v21 offset:34816                  // 0000000081A8: DBFE8800 88000015
	ds_read_b128 a[140:143], v21 offset:35840                  // 0000000081B0: DBFE8C00 8C000015
	v_exp_f32_e32 v40, v40                                     // 0000000081B8: 7E504128
	v_exp_f32_e32 v41, v41                                     // 0000000081BC: 7E524129
	v_mul_f32_e32 v4, v16, v4                                  // 0000000081C0: 0A080910
	v_mov_b32_e32 v28, v34                                     // 0000000081C4: 7E380322
	v_add_f32_e32 v28, v35, v28                                // 0000000081C8: 02383923
	v_add_f32_e32 v28, v36, v28                                // 0000000081CC: 02383924
	v_add_f32_e32 v28, v37, v28                                // 0000000081D0: 02383925
	v_add_f32_e32 v28, v38, v28                                // 0000000081D4: 02383926
	v_add_f32_e32 v28, v39, v28                                // 0000000081D8: 02383927
	v_add_f32_e32 v28, v40, v28                                // 0000000081DC: 02383928
	v_add_f32_e32 v28, v41, v28                                // 0000000081E0: 02383929
	v_add_f32_e32 v4, v28, v4                                  // 0000000081E4: 0208091C
	v_cvt_pk_bf16_f32 v34, v34, v35                            // 0000000081E8: D2680022 00024722
	v_cvt_pk_bf16_f32 v35, v36, v37                            // 0000000081F0: D2680023 00024B24
	v_cvt_pk_bf16_f32 v36, v38, v39                            // 0000000081F8: D2680024 00024F26
	v_cvt_pk_bf16_f32 v37, v40, v41                            // 000000008200: D2680025 00025328
	s_nop 0                                                    // 000000008208: BF800000
	v_permlane32_swap_b32_e32 v34, v36                         // 00000000820C: 7E44B524
	v_permlane32_swap_b32_e32 v35, v37                         // 000000008210: 7E46B525
	s_nop 0                                                    // 000000008214: BF800000
	v_permlane16_swap_b32_e32 v34, v36                         // 000000008218: 7E44B324
	v_permlane16_swap_b32_e32 v35, v37                         // 00000000821C: 7E46B325
	s_waitcnt lgkmcnt(0)                                       // 000000008220: BF8CC07F
	v_mfma_f32_16x16x32_bf16 v[46:49], a[72:75], a[0:3], 0     // 000000008224: D3B5002E 1A020148
	v_mul_f32_e32 v50, v16, v50                                // 00000000822C: 0A646510
	v_mul_f32_e32 v51, v16, v51                                // 000000008230: 0A666710
	ds_read_b64_tr_b16 a[144:145], v12                         // 000000008234: DBC60000 9000000C
	ds_read_b64_tr_b16 a[146:147], v12 offset:256              // 00000000823C: DBC60100 9200000C
	v_mfma_f32_16x16x32_bf16 v[46:49], a[76:79], a[4:7], v[46:49]// 000000008244: D3B5002E 1CBA094C
	buffer_load_dwordx4 v32, s[20:23], 0 offen offset:320 lds  // 00000000824C: E05D1140 80050020
	s_add_i32 m0, m0, 0x3c0                                    // 000000008254: 817CFF7C 000003C0
	v_mul_f32_e32 v52, v16, v52                                // 00000000825C: 0A686910
	v_mul_f32_e32 v53, v16, v53                                // 000000008260: 0A6A6B10
	v_mfma_f32_16x16x32_bf16 v[46:49], a[80:83], a[8:11], v[46:49]// 000000008264: D3B5002E 1CBA1150
	v_mul_f32_e32 v54, v16, v54                                // 00000000826C: 0A6C6D10
	v_mul_f32_e32 v55, v16, v55                                // 000000008270: 0A6E6F10
	ds_read_b64_tr_b16 a[148:149], v13                         // 000000008274: DBC60000 9400000D
	ds_read_b64_tr_b16 a[150:151], v13 offset:256              // 00000000827C: DBC60100 9600000D
	v_mfma_f32_16x16x32_bf16 v[46:49], a[84:87], a[12:15], v[46:49]// 000000008284: D3B5002E 1CBA1954
	v_mul_f32_e32 v56, v16, v56                                // 00000000828C: 0A707110
	v_mul_f32_e32 v57, v16, v57                                // 000000008290: 0A727310
	ds_read_b64_tr_b16 a[152:153], v12 offset:1024             // 000000008294: DBC60400 9800000C
	ds_read_b64_tr_b16 a[154:155], v12 offset:1280             // 00000000829C: DBC60500 9A00000C
	v_mfma_f32_16x16x32_bf16 v[46:49], a[88:91], a[16:19], v[46:49]// 0000000082A4: D3B5002E 1CBA2158
	v_mul_f32_e32 v58, v16, v58                                // 0000000082AC: 0A747510
	v_mul_f32_e32 v59, v16, v59                                // 0000000082B0: 0A767710
	ds_read_b64_tr_b16 a[156:157], v13 offset:1024             // 0000000082B4: DBC60400 9C00000D
	ds_read_b64_tr_b16 a[158:159], v13 offset:1280             // 0000000082BC: DBC60500 9E00000D
	v_mfma_f32_16x16x32_bf16 v[46:49], a[92:95], a[20:23], v[46:49]// 0000000082C4: D3B5002E 1CBA295C
	v_mul_f32_e32 v60, v16, v60                                // 0000000082CC: 0A787910
	v_mul_f32_e32 v61, v16, v61                                // 0000000082D0: 0A7A7B10
	ds_read_b64_tr_b16 a[160:161], v12 offset:2048             // 0000000082D4: DBC60800 A000000C
	ds_read_b64_tr_b16 a[162:163], v12 offset:2304             // 0000000082DC: DBC60900 A200000C
	v_mfma_f32_16x16x32_bf16 v[46:49], a[96:99], a[24:27], v[46:49]// 0000000082E4: D3B5002E 1CBA3160
	v_mul_f32_e32 v62, v16, v62                                // 0000000082EC: 0A7C7D10
	v_mul_f32_e32 v63, v16, v63                                // 0000000082F0: 0A7E7F10
	ds_read_b64_tr_b16 a[164:165], v13 offset:2048             // 0000000082F4: DBC60800 A400000D
	ds_read_b64_tr_b16 a[166:167], v13 offset:2304             // 0000000082FC: DBC60900 A600000D
	v_mfma_f32_16x16x32_bf16 v[46:49], a[100:103], a[28:31], v[46:49]// 000000008304: D3B5002E 1CBA3964
	buffer_load_dwordx4 v32, s[20:23], 0 offen offset:384 lds  // 00000000830C: E05D1180 80050020
	s_add_i32 m0, m0, 0x3c0                                    // 000000008314: 817CFF7C 000003C0
	v_mfma_f32_16x16x32_bf16 v[46:49], a[104:107], a[32:35], v[46:49]// 00000000831C: D3B5002E 1CBA4168
	v_mul_f32_e32 v64, v16, v64                                // 000000008324: 0A808110
	v_mul_f32_e32 v65, v16, v65                                // 000000008328: 0A828310
	ds_read_b64_tr_b16 a[168:169], v12 offset:3072             // 00000000832C: DBC60C00 A800000C
	ds_read_b64_tr_b16 a[170:171], v12 offset:3328             // 000000008334: DBC60D00 AA00000C
	v_mfma_f32_16x16x32_bf16 v[46:49], a[108:111], a[36:39], v[46:49]// 00000000833C: D3B5002E 1CBA496C
	v_mul_f32_e32 v66, v16, v66                                // 000000008344: 0A848510
	v_mul_f32_e32 v67, v16, v67                                // 000000008348: 0A868710
	ds_read_b64_tr_b16 a[172:173], v13 offset:3072             // 00000000834C: DBC60C00 AC00000D
	ds_read_b64_tr_b16 a[174:175], v13 offset:3328             // 000000008354: DBC60D00 AE00000D
	v_mfma_f32_16x16x32_bf16 v[46:49], a[112:115], a[40:43], v[46:49]// 00000000835C: D3B5002E 1CBA5170
	v_mul_f32_e32 v68, v16, v68                                // 000000008364: 0A888910
	v_mul_f32_e32 v69, v16, v69                                // 000000008368: 0A8A8B10
	ds_read_b64_tr_b16 a[176:177], v12 offset:4096             // 00000000836C: DBC61000 B000000C
	ds_read_b64_tr_b16 a[178:179], v12 offset:4352             // 000000008374: DBC61100 B200000C
	v_mfma_f32_16x16x32_bf16 v[46:49], a[116:119], a[44:47], v[46:49]// 00000000837C: D3B5002E 1CBA5974
	buffer_load_dwordx4 v32, s[20:23], 0 offen offset:448 lds  // 000000008384: E05D11C0 80050020
	s_add_i32 m0, m0, 0x3c0                                    // 00000000838C: 817CFF7C 000003C0
	v_mul_f32_e32 v70, v16, v70                                // 000000008394: 0A8C8D10
	v_mul_f32_e32 v71, v16, v71                                // 000000008398: 0A8E8F10
	v_mfma_f32_16x16x32_bf16 v[46:49], a[120:123], a[48:51], v[46:49]// 00000000839C: D3B5002E 1CBA6178
	v_mul_f32_e32 v72, v16, v72                                // 0000000083A4: 0A909110
	v_mul_f32_e32 v73, v16, v73                                // 0000000083A8: 0A929310
	ds_read_b64_tr_b16 a[180:181], v13 offset:4096             // 0000000083AC: DBC61000 B400000D
	ds_read_b64_tr_b16 a[182:183], v13 offset:4352             // 0000000083B4: DBC61100 B600000D
	v_mfma_f32_16x16x32_bf16 v[46:49], a[124:127], a[52:55], v[46:49]// 0000000083BC: D3B5002E 1CBA697C
	v_mul_f32_e32 v74, v16, v74                                // 0000000083C4: 0A949510
	v_mul_f32_e32 v75, v16, v75                                // 0000000083C8: 0A969710
	ds_read_b64_tr_b16 a[184:185], v12 offset:5120             // 0000000083CC: DBC61400 B800000C
	ds_read_b64_tr_b16 a[186:187], v12 offset:5376             // 0000000083D4: DBC61500 BA00000C
	v_mfma_f32_16x16x32_bf16 v[46:49], a[128:131], a[56:59], v[46:49]// 0000000083DC: D3B5002E 1CBA7180
	v_mul_f32_e32 v76, v16, v76                                // 0000000083E4: 0A989910
	v_mul_f32_e32 v77, v16, v77                                // 0000000083E8: 0A9A9B10
	ds_read_b64_tr_b16 a[188:189], v13 offset:5120             // 0000000083EC: DBC61400 BC00000D
	ds_read_b64_tr_b16 a[190:191], v13 offset:5376             // 0000000083F4: DBC61500 BE00000D
	v_mfma_f32_16x16x32_bf16 v[46:49], a[132:135], a[60:63], v[46:49]// 0000000083FC: D3B5002E 1CBA7984
	buffer_load_dwordx4 v32, s[20:23], 0 offen offset:512 lds  // 000000008404: E05D1200 80050020
	s_add_i32 m0, m0, 0x3c0                                    // 00000000840C: 817CFF7C 000003C0
	v_mfma_f32_16x16x32_bf16 v[46:49], a[136:139], a[64:67], v[46:49]// 000000008414: D3B5002E 1CBA8188
	v_mul_f32_e32 v78, v16, v78                                // 00000000841C: 0A9C9D10
	v_mul_f32_e32 v79, v16, v79                                // 000000008420: 0A9E9F10
	ds_read_b64_tr_b16 a[192:193], v12 offset:6144             // 000000008424: DBC61800 C000000C
	ds_read_b64_tr_b16 a[194:195], v12 offset:6400             // 00000000842C: DBC61900 C200000C
	ds_read_b64_tr_b16 a[196:197], v13 offset:6144             // 000000008434: DBC61800 C400000D
	ds_read_b64_tr_b16 a[198:199], v13 offset:6400             // 00000000843C: DBC61900 C600000D
	ds_read_b64_tr_b16 a[200:201], v12 offset:7168             // 000000008444: DBC61C00 C800000C
	ds_read_b64_tr_b16 a[202:203], v12 offset:7424             // 00000000844C: DBC61D00 CA00000C
	ds_read_b64_tr_b16 a[204:205], v13 offset:7168             // 000000008454: DBC61C00 CC00000D
	ds_read_b64_tr_b16 a[206:207], v13 offset:7424             // 00000000845C: DBC61D00 CE00000D
	v_mov_b32_e32 v30, v16                                     // 000000008464: 7E3C0310
	v_mov_b32_e32 v31, v16                                     // 000000008468: 7E3E0310
	v_pk_mul_f32 v[80:81], v[30:31], v[80:81]                  // 00000000846C: D3B14050 1802A11E
	v_pk_mul_f32 v[82:83], v[30:31], v[82:83]                  // 000000008474: D3B14052 1802A51E
	v_pk_mul_f32 v[84:85], v[30:31], v[84:85]                  // 00000000847C: D3B14054 1802A91E
	v_pk_mul_f32 v[86:87], v[30:31], v[86:87]                  // 000000008484: D3B14056 1802AD1E
	v_pk_mul_f32 v[88:89], v[30:31], v[88:89]                  // 00000000848C: D3B14058 1802B11E
	v_pk_mul_f32 v[90:91], v[30:31], v[90:91]                  // 000000008494: D3B1405A 1802B51E
	v_pk_mul_f32 v[92:93], v[30:31], v[92:93]                  // 00000000849C: D3B1405C 1802B91E
	v_pk_mul_f32 v[94:95], v[30:31], v[94:95]                  // 0000000084A4: D3B1405E 1802BD1E
	v_pk_mul_f32 v[96:97], v[30:31], v[96:97]                  // 0000000084AC: D3B14060 1802C11E
	v_pk_mul_f32 v[98:99], v[30:31], v[98:99]                  // 0000000084B4: D3B14062 1802C51E
	v_pk_mul_f32 v[100:101], v[30:31], v[100:101]              // 0000000084BC: D3B14064 1802C91E
	v_pk_mul_f32 v[102:103], v[30:31], v[102:103]              // 0000000084C4: D3B14066 1802CD1E
	v_pk_mul_f32 v[104:105], v[30:31], v[104:105]              // 0000000084CC: D3B14068 1802D11E
	v_pk_mul_f32 v[106:107], v[30:31], v[106:107]              // 0000000084D4: D3B1406A 1802D51E
	v_pk_mul_f32 v[108:109], v[30:31], v[108:109]              // 0000000084DC: D3B1406C 1802D91E
	v_pk_mul_f32 v[110:111], v[30:31], v[110:111]              // 0000000084E4: D3B1406E 1802DD1E
	v_pk_mul_f32 v[112:113], v[30:31], v[112:113]              // 0000000084EC: D3B14070 1802E11E
	v_pk_mul_f32 v[114:115], v[30:31], v[114:115]              // 0000000084F4: D3B14072 1802E51E
	v_pk_mul_f32 v[116:117], v[30:31], v[116:117]              // 0000000084FC: D3B14074 1802E91E
	v_pk_mul_f32 v[118:119], v[30:31], v[118:119]              // 000000008504: D3B14076 1802ED1E
	v_pk_mul_f32 v[120:121], v[30:31], v[120:121]              // 00000000850C: D3B14078 1802F11E
	v_pk_mul_f32 v[122:123], v[30:31], v[122:123]              // 000000008514: D3B1407A 1802F51E
	v_pk_mul_f32 v[124:125], v[30:31], v[124:125]              // 00000000851C: D3B1407C 1802F91E
	v_pk_mul_f32 v[126:127], v[30:31], v[126:127]              // 000000008524: D3B1407E 1802FD1E
	v_pk_mul_f32 v[128:129], v[30:31], v[128:129]              // 00000000852C: D3B14080 1803011E
	v_pk_mul_f32 v[130:131], v[30:31], v[130:131]              // 000000008534: D3B14082 1803051E
	v_pk_mul_f32 v[132:133], v[30:31], v[132:133]              // 00000000853C: D3B14084 1803091E
	v_pk_mul_f32 v[134:135], v[30:31], v[134:135]              // 000000008544: D3B14086 18030D1E
	v_pk_mul_f32 v[136:137], v[30:31], v[136:137]              // 00000000854C: D3B14088 1803111E
	v_pk_mul_f32 v[138:139], v[30:31], v[138:139]              // 000000008554: D3B1408A 1803151E
	v_pk_mul_f32 v[140:141], v[30:31], v[140:141]              // 00000000855C: D3B1408C 1803191E
	v_pk_mul_f32 v[142:143], v[30:31], v[142:143]              // 000000008564: D3B1408E 18031D1E
	v_pk_mul_f32 v[144:145], v[30:31], v[144:145]              // 00000000856C: D3B14090 1803211E
	v_pk_mul_f32 v[146:147], v[30:31], v[146:147]              // 000000008574: D3B14092 1803251E
	v_pk_mul_f32 v[148:149], v[30:31], v[148:149]              // 00000000857C: D3B14094 1803291E
	v_pk_mul_f32 v[150:151], v[30:31], v[150:151]              // 000000008584: D3B14096 18032D1E
	v_pk_mul_f32 v[152:153], v[30:31], v[152:153]              // 00000000858C: D3B14098 1803311E
	v_pk_mul_f32 v[154:155], v[30:31], v[154:155]              // 000000008594: D3B1409A 1803351E
	v_pk_mul_f32 v[156:157], v[30:31], v[156:157]              // 00000000859C: D3B1409C 1803391E
	v_pk_mul_f32 v[158:159], v[30:31], v[158:159]              // 0000000085A4: D3B1409E 18033D1E
	v_pk_mul_f32 v[160:161], v[30:31], v[160:161]              // 0000000085AC: D3B140A0 1803411E
	v_pk_mul_f32 v[162:163], v[30:31], v[162:163]              // 0000000085B4: D3B140A2 1803451E
	v_pk_mul_f32 v[164:165], v[30:31], v[164:165]              // 0000000085BC: D3B140A4 1803491E
	v_pk_mul_f32 v[166:167], v[30:31], v[166:167]              // 0000000085C4: D3B140A6 18034D1E
	v_pk_mul_f32 v[168:169], v[30:31], v[168:169]              // 0000000085CC: D3B140A8 1803511E
	v_pk_mul_f32 v[170:171], v[30:31], v[170:171]              // 0000000085D4: D3B140AA 1803551E
	v_pk_mul_f32 v[172:173], v[30:31], v[172:173]              // 0000000085DC: D3B140AC 1803591E
	v_pk_mul_f32 v[174:175], v[30:31], v[174:175]              // 0000000085E4: D3B140AE 18035D1E
	v_pk_mul_f32 v[176:177], v[30:31], v[176:177]              // 0000000085EC: D3B140B0 1803611E
	v_mfma_f32_16x16x32_bf16 v[46:49], a[140:143], a[68:71], v[46:49]// 0000000085F4: D3B5002E 1CBA898C
	s_addk_i32 s70, 0x1                                        // 0000000085FC: B7460001
	s_cmp_lt_i32 s70, s71                                      // 000000008600: BF044746
	s_cbranch_scc0 label_3B3C                                  // 000000008604: BF84F68D
	s_branch label_3B48                                        // 000000008608: BF82F68F

000000000000860c <label_610C>:
	ds_read_b64_tr_b16 a[144:145], v12                         // 00000000860C: DBC60000 9000000C
	ds_read_b64_tr_b16 a[146:147], v12 offset:256              // 000000008614: DBC60100 9200000C
	ds_read_b64_tr_b16 a[148:149], v13                         // 00000000861C: DBC60000 9400000D
	ds_read_b64_tr_b16 a[150:151], v13 offset:256              // 000000008624: DBC60100 9600000D
	ds_read_b64_tr_b16 a[152:153], v12 offset:1024             // 00000000862C: DBC60400 9800000C
	ds_read_b64_tr_b16 a[154:155], v12 offset:1280             // 000000008634: DBC60500 9A00000C
	ds_read_b64_tr_b16 a[156:157], v13 offset:1024             // 00000000863C: DBC60400 9C00000D
	ds_read_b64_tr_b16 a[158:159], v13 offset:1280             // 000000008644: DBC60500 9E00000D
	ds_read_b64_tr_b16 a[160:161], v12 offset:2048             // 00000000864C: DBC60800 A000000C
	ds_read_b64_tr_b16 a[162:163], v12 offset:2304             // 000000008654: DBC60900 A200000C
	ds_read_b64_tr_b16 a[164:165], v13 offset:2048             // 00000000865C: DBC60800 A400000D
	ds_read_b64_tr_b16 a[166:167], v13 offset:2304             // 000000008664: DBC60900 A600000D
	ds_read_b64_tr_b16 a[168:169], v12 offset:3072             // 00000000866C: DBC60C00 A800000C
	ds_read_b64_tr_b16 a[170:171], v12 offset:3328             // 000000008674: DBC60D00 AA00000C
	ds_read_b64_tr_b16 a[172:173], v13 offset:3072             // 00000000867C: DBC60C00 AC00000D
	ds_read_b64_tr_b16 a[174:175], v13 offset:3328             // 000000008684: DBC60D00 AE00000D
	s_waitcnt lgkmcnt(0)                                       // 00000000868C: BF8CC07F
	v_mfma_f32_16x16x32_bf16 v[50:53], a[144:147], v[34:37], v[50:53]// 000000008690: D3B50032 0CCA4590
	ds_read_b64_tr_b16 a[176:177], v12 offset:4096             // 000000008698: DBC61000 B000000C
	ds_read_b64_tr_b16 a[178:179], v12 offset:4352             // 0000000086A0: DBC61100 B200000C
	ds_read_b64_tr_b16 a[180:181], v13 offset:4096             // 0000000086A8: DBC61000 B400000D
	ds_read_b64_tr_b16 a[182:183], v13 offset:4352             // 0000000086B0: DBC61100 B600000D
	v_mfma_f32_16x16x32_bf16 v[54:57], a[148:151], v[34:37], v[54:57]// 0000000086B8: D3B50036 0CDA4594
	v_mfma_f32_16x16x32_bf16 v[58:61], a[152:155], v[34:37], v[58:61]// 0000000086C0: D3B5003A 0CEA4598
	ds_read_b64_tr_b16 a[184:185], v12 offset:5120             // 0000000086C8: DBC61400 B800000C
	ds_read_b64_tr_b16 a[186:187], v12 offset:5376             // 0000000086D0: DBC61500 BA00000C
	ds_read_b64_tr_b16 a[188:189], v13 offset:5120             // 0000000086D8: DBC61400 BC00000D
	ds_read_b64_tr_b16 a[190:191], v13 offset:5376             // 0000000086E0: DBC61500 BE00000D
	v_mfma_f32_16x16x32_bf16 v[62:65], a[156:159], v[34:37], v[62:65]// 0000000086E8: D3B5003E 0CFA459C
	v_mfma_f32_16x16x32_bf16 v[66:69], a[160:163], v[34:37], v[66:69]// 0000000086F0: D3B50042 0D0A45A0
	ds_read_b64_tr_b16 a[192:193], v12 offset:6144             // 0000000086F8: DBC61800 C000000C
	ds_read_b64_tr_b16 a[194:195], v12 offset:6400             // 000000008700: DBC61900 C200000C
	ds_read_b64_tr_b16 a[196:197], v13 offset:6144             // 000000008708: DBC61800 C400000D
	ds_read_b64_tr_b16 a[198:199], v13 offset:6400             // 000000008710: DBC61900 C600000D
	v_mfma_f32_16x16x32_bf16 v[70:73], a[164:167], v[34:37], v[70:73]// 000000008718: D3B50046 0D1A45A4
	v_mfma_f32_16x16x32_bf16 v[74:77], a[168:171], v[34:37], v[74:77]// 000000008720: D3B5004A 0D2A45A8
	ds_read_b64_tr_b16 a[200:201], v12 offset:7168             // 000000008728: DBC61C00 C800000C
	ds_read_b64_tr_b16 a[202:203], v12 offset:7424             // 000000008730: DBC61D00 CA00000C
	ds_read_b64_tr_b16 a[204:205], v13 offset:7168             // 000000008738: DBC61C00 CC00000D
	ds_read_b64_tr_b16 a[206:207], v13 offset:7424             // 000000008740: DBC61D00 CE00000D
	v_mfma_f32_16x16x32_bf16 v[78:81], a[172:175], v[34:37], v[78:81]// 000000008748: D3B5004E 0D3A45AC
	v_mfma_f32_16x16x32_bf16 v[82:85], a[176:179], v[34:37], v[82:85]// 000000008750: D3B50052 0D4A45B0
	ds_read_b64_tr_b16 a[144:145], v12 offset:8192             // 000000008758: DBC62000 9000000C
	ds_read_b64_tr_b16 a[146:147], v12 offset:8448             // 000000008760: DBC62100 9200000C
	ds_read_b64_tr_b16 a[148:149], v13 offset:8192             // 000000008768: DBC62000 9400000D
	ds_read_b64_tr_b16 a[150:151], v13 offset:8448             // 000000008770: DBC62100 9600000D
	v_mfma_f32_16x16x32_bf16 v[86:89], a[180:183], v[34:37], v[86:89]// 000000008778: D3B50056 0D5A45B4
	v_mfma_f32_16x16x32_bf16 v[90:93], a[184:187], v[34:37], v[90:93]// 000000008780: D3B5005A 0D6A45B8
	ds_read_b64_tr_b16 a[152:153], v12 offset:9216             // 000000008788: DBC62400 9800000C
	ds_read_b64_tr_b16 a[154:155], v12 offset:9472             // 000000008790: DBC62500 9A00000C
	ds_read_b64_tr_b16 a[156:157], v13 offset:9216             // 000000008798: DBC62400 9C00000D
	ds_read_b64_tr_b16 a[158:159], v13 offset:9472             // 0000000087A0: DBC62500 9E00000D
	v_mfma_f32_16x16x32_bf16 v[94:97], a[188:191], v[34:37], v[94:97]// 0000000087A8: D3B5005E 0D7A45BC
	v_mfma_f32_16x16x32_bf16 v[98:101], a[192:195], v[34:37], v[98:101]// 0000000087B0: D3B50062 0D8A45C0
	ds_read_b64_tr_b16 a[160:161], v12 offset:10240            // 0000000087B8: DBC62800 A000000C
	ds_read_b64_tr_b16 a[162:163], v12 offset:10496            // 0000000087C0: DBC62900 A200000C
	ds_read_b64_tr_b16 a[164:165], v13 offset:10240            // 0000000087C8: DBC62800 A400000D
	ds_read_b64_tr_b16 a[166:167], v13 offset:10496            // 0000000087D0: DBC62900 A600000D
	v_mfma_f32_16x16x32_bf16 v[102:105], a[196:199], v[34:37], v[102:105]// 0000000087D8: D3B50066 0D9A45C4
	v_mfma_f32_16x16x32_bf16 v[106:109], a[200:203], v[34:37], v[106:109]// 0000000087E0: D3B5006A 0DAA45C8
	ds_read_b64_tr_b16 a[168:169], v12 offset:11264            // 0000000087E8: DBC62C00 A800000C
	ds_read_b64_tr_b16 a[170:171], v12 offset:11520            // 0000000087F0: DBC62D00 AA00000C
	ds_read_b64_tr_b16 a[172:173], v13 offset:11264            // 0000000087F8: DBC62C00 AC00000D
	ds_read_b64_tr_b16 a[174:175], v13 offset:11520            // 000000008800: DBC62D00 AE00000D
	v_mfma_f32_16x16x32_bf16 v[110:113], a[204:207], v[34:37], v[110:113]// 000000008808: D3B5006E 0DBA45CC
	v_mfma_f32_16x16x32_bf16 v[114:117], a[144:147], v[34:37], v[114:117]// 000000008810: D3B50072 0DCA4590
	ds_read_b64_tr_b16 a[176:177], v12 offset:12288            // 000000008818: DBC63000 B000000C
	ds_read_b64_tr_b16 a[178:179], v12 offset:12544            // 000000008820: DBC63100 B200000C
	ds_read_b64_tr_b16 a[180:181], v13 offset:12288            // 000000008828: DBC63000 B400000D
	ds_read_b64_tr_b16 a[182:183], v13 offset:12544            // 000000008830: DBC63100 B600000D
	v_mfma_f32_16x16x32_bf16 v[118:121], a[148:151], v[34:37], v[118:121]// 000000008838: D3B50076 0DDA4594
	ds_read_b64_tr_b16 a[184:185], v12 offset:13312            // 000000008840: DBC63400 B800000C
	ds_read_b64_tr_b16 a[186:187], v12 offset:13568            // 000000008848: DBC63500 BA00000C
	ds_read_b64_tr_b16 a[188:189], v13 offset:13312            // 000000008850: DBC63400 BC00000D
	ds_read_b64_tr_b16 a[190:191], v13 offset:13568            // 000000008858: DBC63500 BE00000D
	v_mfma_f32_16x16x32_bf16 v[122:125], a[152:155], v[34:37], v[122:125]// 000000008860: D3B5007A 0DEA4598
	ds_read_b64_tr_b16 a[192:193], v12 offset:14336            // 000000008868: DBC63800 C000000C
	ds_read_b64_tr_b16 a[194:195], v12 offset:14592            // 000000008870: DBC63900 C200000C
	ds_read_b64_tr_b16 a[196:197], v13 offset:14336            // 000000008878: DBC63800 C400000D
	ds_read_b64_tr_b16 a[198:199], v13 offset:14592            // 000000008880: DBC63900 C600000D
	v_mfma_f32_16x16x32_bf16 v[126:129], a[156:159], v[34:37], v[126:129]// 000000008888: D3B5007E 0DFA459C
	ds_read_b64_tr_b16 a[200:201], v12 offset:15360            // 000000008890: DBC63C00 C800000C
	ds_read_b64_tr_b16 a[202:203], v12 offset:15616            // 000000008898: DBC63D00 CA00000C
	ds_read_b64_tr_b16 a[204:205], v13 offset:15360            // 0000000088A0: DBC63C00 CC00000D
	ds_read_b64_tr_b16 a[206:207], v13 offset:15616            // 0000000088A8: DBC63D00 CE00000D
	v_mfma_f32_16x16x32_bf16 v[130:133], a[160:163], v[34:37], v[130:133]// 0000000088B0: D3B50082 0E0A45A0
	v_mfma_f32_16x16x32_bf16 v[134:137], a[164:167], v[34:37], v[134:137]// 0000000088B8: D3B50086 0E1A45A4
	v_mfma_f32_16x16x32_bf16 v[138:141], a[168:171], v[34:37], v[138:141]// 0000000088C0: D3B5008A 0E2A45A8
	v_mfma_f32_16x16x32_bf16 v[142:145], a[172:175], v[34:37], v[142:145]// 0000000088C8: D3B5008E 0E3A45AC
	v_mfma_f32_16x16x32_bf16 v[146:149], a[176:179], v[34:37], v[146:149]// 0000000088D0: D3B50092 0E4A45B0
	v_mfma_f32_16x16x32_bf16 v[150:153], a[180:183], v[34:37], v[150:153]// 0000000088D8: D3B50096 0E5A45B4
	v_mfma_f32_16x16x32_bf16 v[154:157], a[184:187], v[34:37], v[154:157]// 0000000088E0: D3B5009A 0E6A45B8
	v_mfma_f32_16x16x32_bf16 v[158:161], a[188:191], v[34:37], v[158:161]// 0000000088E8: D3B5009E 0E7A45BC
	v_mfma_f32_16x16x32_bf16 v[162:165], a[192:195], v[34:37], v[162:165]// 0000000088F0: D3B500A2 0E8A45C0
	v_mfma_f32_16x16x32_bf16 v[166:169], a[196:199], v[34:37], v[166:169]// 0000000088F8: D3B500A6 0E9A45C4
	v_mfma_f32_16x16x32_bf16 v[170:173], a[200:203], v[34:37], v[170:173]// 000000008900: D3B500AA 0EAA45C8
	v_mfma_f32_16x16x32_bf16 v[174:177], a[204:207], v[34:37], v[174:177]// 000000008908: D3B500AE 0EBA45CC
	s_branch label_8CB8                                        // 000000008910: BF820A29

0000000000008914 <label_6414>:
	s_and_b32 s56, 3, s71                                      // 000000008914: 86384783
	s_cmp_eq_i32 s56, 0                                        // 000000008918: BF008038
	s_cbranch_scc1 label_7878                                  // 00000000891C: BF850516
	s_cmp_eq_i32 s56, 1                                        // 000000008920: BF008138
	s_cbranch_scc1 label_8298                                  // 000000008924: BF85079C
	s_cmp_eq_i32 s56, 3                                        // 000000008928: BF008338
	s_cbranch_scc1 label_6E58                                  // 00000000892C: BF85028A
	s_cmp_eq_i32 s56, 2                                        // 000000008930: BF008238
	s_cbranch_scc1 label_6438                                  // 000000008934: BF850000

0000000000008938 <label_6438>:
	s_sub_u32 s56, s71, 2                                      // 000000008938: 80B88247
	s_mul_i32 s56, s84, s56                                    // 00000000893C: 92383854
	s_add_u32 s83, s56, s83                                    // 000000008940: 80535338
	s_cmp_le_i32 s83, s82                                      // 000000008944: BF055253
	s_cbranch_scc1 label_6554                                  // 000000008948: BF850042
	v_mov_b32_e32 v28, s82                                     // 00000000894C: 7E380252
	s_cmp_eq_i32 s81, 1                                        // 000000008950: BF008151
	s_cbranch_scc1 label_6470                                  // 000000008954: BF850006
	s_cmp_eq_i32 s81, 2                                        // 000000008958: BF008251
	s_cbranch_scc1 label_6468                                  // 00000000895C: BF850002
	v_add_u32_e32 v28, s7, v28                                 // 000000008960: 68383807
	s_branch label_6470                                        // 000000008964: BF820002

0000000000008968 <label_6468>:
	s_lshr_b32 s56, s7, 1                                      // 000000008968: 8F388107
	v_add_u32_e32 v28, s56, v28                                // 00000000896C: 68383838

0000000000008970 <label_6470>:
	s_sub_u32 s56, s83, 31                                     // 000000008970: 80B89F53
	v_lshrrev_b32_e32 v18, 4, v0                               // 000000008974: 20240084
	v_mul_i32_i24_e32 v18, 4, v18                              // 000000008978: 0C242484
	v_add_u32_e32 v18, s56, v18                                // 00000000897C: 68242438
	v_add_u32_e32 v19, 1, v18                                  // 000000008980: 68262481
	v_add_u32_e32 v20, 2, v18                                  // 000000008984: 68282482
	v_add_u32_e32 v21, 3, v18                                  // 000000008988: 682A2483
	v_mov_b32_e32 v29, 0xff800000                              // 00000000898C: 7E3A02FF FF800000
	v_cmp_le_u32_e64 s[36:37], v18, v28                        // 000000008994: D0CB0024 00023912
	v_add_u32_e32 v18, 16, v18                                 // 00000000899C: 68242490
	s_nop 0                                                    // 0000000089A0: BF800000
	v_cndmask_b32_e64 v42, v29, v42, s[36:37]                  // 0000000089A4: D100002A 0092551D
	v_cmp_le_u32_e64 s[36:37], v19, v28                        // 0000000089AC: D0CB0024 00023913
	v_add_u32_e32 v19, 16, v19                                 // 0000000089B4: 68262690
	s_nop 0                                                    // 0000000089B8: BF800000
	v_cndmask_b32_e64 v43, v29, v43, s[36:37]                  // 0000000089BC: D100002B 0092571D
	v_cmp_le_u32_e64 s[36:37], v20, v28                        // 0000000089C4: D0CB0024 00023914
	v_add_u32_e32 v20, 16, v20                                 // 0000000089CC: 68282890
	s_nop 0                                                    // 0000000089D0: BF800000
	v_cndmask_b32_e64 v44, v29, v44, s[36:37]                  // 0000000089D4: D100002C 0092591D
	v_cmp_le_u32_e64 s[36:37], v21, v28                        // 0000000089DC: D0CB0024 00023915
	v_add_u32_e32 v21, 16, v21                                 // 0000000089E4: 682A2A90
	s_nop 0                                                    // 0000000089E8: BF800000
	v_cndmask_b32_e64 v45, v29, v45, s[36:37]                  // 0000000089EC: D100002D 00925B1D
	v_cmp_le_u32_e64 s[36:37], v18, v28                        // 0000000089F4: D0CB0024 00023912
	v_add_u32_e32 v18, 16, v18                                 // 0000000089FC: 68242490
	s_nop 0                                                    // 000000008A00: BF800000
	v_cndmask_b32_e64 v46, v29, v46, s[36:37]                  // 000000008A04: D100002E 00925D1D
	v_cmp_le_u32_e64 s[36:37], v19, v28                        // 000000008A0C: D0CB0024 00023913
	v_add_u32_e32 v19, 16, v19                                 // 000000008A14: 68262690
	s_nop 0                                                    // 000000008A18: BF800000
	v_cndmask_b32_e64 v47, v29, v47, s[36:37]                  // 000000008A1C: D100002F 00925F1D
	v_cmp_le_u32_e64 s[36:37], v20, v28                        // 000000008A24: D0CB0024 00023914
	v_add_u32_e32 v20, 16, v20                                 // 000000008A2C: 68282890
	s_nop 0                                                    // 000000008A30: BF800000
	v_cndmask_b32_e64 v48, v29, v48, s[36:37]                  // 000000008A34: D1000030 0092611D
	v_cmp_le_u32_e64 s[36:37], v21, v28                        // 000000008A3C: D0CB0024 00023915
	v_add_u32_e32 v21, 16, v21                                 // 000000008A44: 682A2A90
	s_nop 0                                                    // 000000008A48: BF800000
	v_cndmask_b32_e64 v49, v29, v49, s[36:37]                  // 000000008A4C: D1000031 0092631D

0000000000008a54 <label_6554>:
	s_add_u32 s83, s84, s83                                    // 000000008A54: 80535354
	s_nop 2                                                    // 000000008A58: BF800002
	v_mov_b32_e32 v29, v42                                     // 000000008A5C: 7E3A032A
	v_max3_f32 v29, v42, v43, v29                              // 000000008A60: D1D3001D 0476572A
	v_max3_f32 v29, v44, v45, v29                              // 000000008A68: D1D3001D 04765B2C
	v_max3_f32 v29, v46, v47, v29                              // 000000008A70: D1D3001D 04765F2E
	v_max3_f32 v29, v48, v49, v29                              // 000000008A78: D1D3001D 04766330
	v_mov_b32_e32 v28, v29                                     // 000000008A80: 7E38031D
	v_mov_b32_e32 v29, v29                                     // 000000008A84: 7E3A031D
	s_nop 1                                                    // 000000008A88: BF800001
	v_permlane16_swap_b32_e32 v28, v29                         // 000000008A8C: 7E38B31D
	v_mov_b32_e32 v31, v28                                     // 000000008A90: 7E3E031C
	v_mov_b32_e32 v30, v29                                     // 000000008A94: 7E3C031D
	s_nop 1                                                    // 000000008A98: BF800001
	v_permlane32_swap_b32_e32 v28, v29                         // 000000008A9C: 7E38B51D
	v_permlane32_swap_b32_e32 v30, v31                         // 000000008AA0: 7E3CB51F
	v_max3_f32 v29, v28, v29, v29                              // 000000008AA4: D1D3001D 04763B1C
	v_max3_f32 v29, v30, v31, v29                              // 000000008AAC: D1D3001D 04763F1E
	v_mov_b32_e32 v28, 0xff800000                              // 000000008AB4: 7E3802FF FF800000
	v_cmp_eq_u32_e64 s[36:37], v28, v2                         // 000000008ABC: D0CA0024 0002051C
	v_max_f32_e32 v29, v29, v2                                 // 000000008AC4: 163A051D
	v_sub_f32_e32 v16, v2, v29                                 // 000000008AC8: 04203B02
	v_cndmask_b32_e64 v16, v16, 0, s[36:37]                    // 000000008ACC: D1000010 00910110
	v_mov_b32_e32 v2, v29                                      // 000000008AD4: 7E04031D
	v_mul_f32_e32 v29, s5, v29                                 // 000000008AD8: 0A3A3A05
	v_mul_f32_e32 v16, s5, v16                                 // 000000008ADC: 0A202005
	v_exp_f32_e32 v16, v16                                     // 000000008AE0: 7E204110
	v_fma_f32 v42, v42, s5, -v29                               // 000000008AE4: D1CB002A 84740B2A
	v_fma_f32 v43, v43, s5, -v29                               // 000000008AEC: D1CB002B 84740B2B
	v_fma_f32 v44, v44, s5, -v29                               // 000000008AF4: D1CB002C 84740B2C
	v_fma_f32 v45, v45, s5, -v29                               // 000000008AFC: D1CB002D 84740B2D
	v_fma_f32 v46, v46, s5, -v29                               // 000000008B04: D1CB002E 84740B2E
	v_fma_f32 v47, v47, s5, -v29                               // 000000008B0C: D1CB002F 84740B2F
	v_fma_f32 v48, v48, s5, -v29                               // 000000008B14: D1CB0030 84740B30
	v_fma_f32 v49, v49, s5, -v29                               // 000000008B1C: D1CB0031 84740B31
	v_exp_f32_e32 v42, v42                                     // 000000008B24: 7E54412A
	v_exp_f32_e32 v43, v43                                     // 000000008B28: 7E56412B
	v_exp_f32_e32 v44, v44                                     // 000000008B2C: 7E58412C
	v_exp_f32_e32 v45, v45                                     // 000000008B30: 7E5A412D
	v_exp_f32_e32 v46, v46                                     // 000000008B34: 7E5C412E
	v_exp_f32_e32 v47, v47                                     // 000000008B38: 7E5E412F
	v_exp_f32_e32 v48, v48                                     // 000000008B3C: 7E604130
	v_exp_f32_e32 v49, v49                                     // 000000008B40: 7E624131
	v_mul_f32_e32 v4, v16, v4                                  // 000000008B44: 0A080910
	v_mov_b32_e32 v28, v42                                     // 000000008B48: 7E38032A
	v_add_f32_e32 v28, v43, v28                                // 000000008B4C: 0238392B
	v_add_f32_e32 v28, v44, v28                                // 000000008B50: 0238392C
	v_add_f32_e32 v28, v45, v28                                // 000000008B54: 0238392D
	v_add_f32_e32 v28, v46, v28                                // 000000008B58: 0238392E
	v_add_f32_e32 v28, v47, v28                                // 000000008B5C: 0238392F
	v_add_f32_e32 v28, v48, v28                                // 000000008B60: 02383930
	v_add_f32_e32 v28, v49, v28                                // 000000008B64: 02383931
	v_add_f32_e32 v4, v28, v4                                  // 000000008B68: 0208091C
	v_cvt_pk_bf16_f32 v42, v42, v43                            // 000000008B6C: D268002A 0002572A
	v_cvt_pk_bf16_f32 v43, v44, v45                            // 000000008B74: D268002B 00025B2C
	v_cvt_pk_bf16_f32 v44, v46, v47                            // 000000008B7C: D268002C 00025F2E
	v_cvt_pk_bf16_f32 v45, v48, v49                            // 000000008B84: D268002D 00026330
	s_nop 0                                                    // 000000008B8C: BF800000
	v_permlane32_swap_b32_e32 v42, v44                         // 000000008B90: 7E54B52C
	v_permlane32_swap_b32_e32 v43, v45                         // 000000008B94: 7E56B52D
	s_nop 0                                                    // 000000008B98: BF800000
	v_permlane16_swap_b32_e32 v42, v44                         // 000000008B9C: 7E54B32C
	v_permlane16_swap_b32_e32 v43, v45                         // 000000008BA0: 7E56B32D
	s_waitcnt lgkmcnt(4)                                       // 000000008BA4: BF8CC47F
	v_mfma_f32_16x16x32_bf16 v[50:53], a[144:147], v[34:37], v[50:53]// 000000008BA8: D3B50032 0CCA4590
	v_mfma_f32_16x16x32_bf16 v[54:57], a[148:151], v[34:37], v[54:57]// 000000008BB0: D3B50036 0CDA4594
	v_mfma_f32_16x16x32_bf16 v[58:61], a[152:155], v[34:37], v[58:61]// 000000008BB8: D3B5003A 0CEA4598
	v_mfma_f32_16x16x32_bf16 v[62:65], a[156:159], v[34:37], v[62:65]// 000000008BC0: D3B5003E 0CFA459C
	v_mfma_f32_16x16x32_bf16 v[66:69], a[160:163], v[34:37], v[66:69]// 000000008BC8: D3B50042 0D0A45A0
	v_mfma_f32_16x16x32_bf16 v[70:73], a[164:167], v[34:37], v[70:73]// 000000008BD0: D3B50046 0D1A45A4
	v_mfma_f32_16x16x32_bf16 v[74:77], a[168:171], v[34:37], v[74:77]// 000000008BD8: D3B5004A 0D2A45A8
	v_mfma_f32_16x16x32_bf16 v[78:81], a[172:175], v[34:37], v[78:81]// 000000008BE0: D3B5004E 0D3A45AC
	v_mfma_f32_16x16x32_bf16 v[82:85], a[176:179], v[34:37], v[82:85]// 000000008BE8: D3B50052 0D4A45B0
	v_mfma_f32_16x16x32_bf16 v[86:89], a[180:183], v[34:37], v[86:89]// 000000008BF0: D3B50056 0D5A45B4
	v_mfma_f32_16x16x32_bf16 v[90:93], a[184:187], v[34:37], v[90:93]// 000000008BF8: D3B5005A 0D6A45B8
	v_mfma_f32_16x16x32_bf16 v[94:97], a[188:191], v[34:37], v[94:97]// 000000008C00: D3B5005E 0D7A45BC
	v_mfma_f32_16x16x32_bf16 v[98:101], a[192:195], v[34:37], v[98:101]// 000000008C08: D3B50062 0D8A45C0
	v_mfma_f32_16x16x32_bf16 v[102:105], a[196:199], v[34:37], v[102:105]// 000000008C10: D3B50066 0D9A45C4
	v_mfma_f32_16x16x32_bf16 v[106:109], a[200:203], v[34:37], v[106:109]// 000000008C18: D3B5006A 0DAA45C8
	v_mfma_f32_16x16x32_bf16 v[110:113], a[204:207], v[34:37], v[110:113]// 000000008C20: D3B5006E 0DBA45CC
	ds_read_b64_tr_b16 a[144:145], v12 offset:8192             // 000000008C28: DBC62000 9000000C
	ds_read_b64_tr_b16 a[146:147], v12 offset:8448             // 000000008C30: DBC62100 9200000C
	ds_read_b64_tr_b16 a[148:149], v13 offset:8192             // 000000008C38: DBC62000 9400000D
	ds_read_b64_tr_b16 a[150:151], v13 offset:8448             // 000000008C40: DBC62100 9600000D
	ds_read_b64_tr_b16 a[152:153], v12 offset:9216             // 000000008C48: DBC62400 9800000C
	ds_read_b64_tr_b16 a[154:155], v12 offset:9472             // 000000008C50: DBC62500 9A00000C
	ds_read_b64_tr_b16 a[156:157], v13 offset:9216             // 000000008C58: DBC62400 9C00000D
	ds_read_b64_tr_b16 a[158:159], v13 offset:9472             // 000000008C60: DBC62500 9E00000D
	ds_read_b64_tr_b16 a[160:161], v12 offset:10240            // 000000008C68: DBC62800 A000000C
	ds_read_b64_tr_b16 a[162:163], v12 offset:10496            // 000000008C70: DBC62900 A200000C
	ds_read_b64_tr_b16 a[164:165], v13 offset:10240            // 000000008C78: DBC62800 A400000D
	ds_read_b64_tr_b16 a[166:167], v13 offset:10496            // 000000008C80: DBC62900 A600000D
	ds_read_b64_tr_b16 a[168:169], v12 offset:11264            // 000000008C88: DBC62C00 A800000C
	ds_read_b64_tr_b16 a[170:171], v12 offset:11520            // 000000008C90: DBC62D00 AA00000C
	ds_read_b64_tr_b16 a[172:173], v13 offset:11264            // 000000008C98: DBC62C00 AC00000D
	ds_read_b64_tr_b16 a[174:175], v13 offset:11520            // 000000008CA0: DBC62D00 AE00000D
	ds_read_b64_tr_b16 a[176:177], v12 offset:12288            // 000000008CA8: DBC63000 B000000C
	ds_read_b64_tr_b16 a[178:179], v12 offset:12544            // 000000008CB0: DBC63100 B200000C
	ds_read_b64_tr_b16 a[180:181], v13 offset:12288            // 000000008CB8: DBC63000 B400000D
	ds_read_b64_tr_b16 a[182:183], v13 offset:12544            // 000000008CC0: DBC63100 B600000D
	ds_read_b64_tr_b16 a[184:185], v12 offset:13312            // 000000008CC8: DBC63400 B800000C
	ds_read_b64_tr_b16 a[186:187], v12 offset:13568            // 000000008CD0: DBC63500 BA00000C
	ds_read_b64_tr_b16 a[188:189], v13 offset:13312            // 000000008CD8: DBC63400 BC00000D
	ds_read_b64_tr_b16 a[190:191], v13 offset:13568            // 000000008CE0: DBC63500 BE00000D
	ds_read_b64_tr_b16 a[192:193], v12 offset:14336            // 000000008CE8: DBC63800 C000000C
	ds_read_b64_tr_b16 a[194:195], v12 offset:14592            // 000000008CF0: DBC63900 C200000C
	ds_read_b64_tr_b16 a[196:197], v13 offset:14336            // 000000008CF8: DBC63800 C400000D
	ds_read_b64_tr_b16 a[198:199], v13 offset:14592            // 000000008D00: DBC63900 C600000D
	ds_read_b64_tr_b16 a[200:201], v12 offset:15360            // 000000008D08: DBC63C00 C800000C
	ds_read_b64_tr_b16 a[202:203], v12 offset:15616            // 000000008D10: DBC63D00 CA00000C
	ds_read_b64_tr_b16 a[204:205], v13 offset:15360            // 000000008D18: DBC63C00 CC00000D
	ds_read_b64_tr_b16 a[206:207], v13 offset:15616            // 000000008D20: DBC63D00 CE00000D
	s_waitcnt lgkmcnt(0)                                       // 000000008D28: BF8CC07F
	v_mfma_f32_16x16x32_bf16 v[114:117], a[144:147], v[34:37], v[114:117]// 000000008D2C: D3B50072 0DCA4590
	v_mfma_f32_16x16x32_bf16 v[118:121], a[148:151], v[34:37], v[118:121]// 000000008D34: D3B50076 0DDA4594
	v_mfma_f32_16x16x32_bf16 v[122:125], a[152:155], v[34:37], v[122:125]// 000000008D3C: D3B5007A 0DEA4598
	v_mfma_f32_16x16x32_bf16 v[126:129], a[156:159], v[34:37], v[126:129]// 000000008D44: D3B5007E 0DFA459C
	v_mfma_f32_16x16x32_bf16 v[130:133], a[160:163], v[34:37], v[130:133]// 000000008D4C: D3B50082 0E0A45A0
	v_mfma_f32_16x16x32_bf16 v[134:137], a[164:167], v[34:37], v[134:137]// 000000008D54: D3B50086 0E1A45A4
	v_mfma_f32_16x16x32_bf16 v[138:141], a[168:171], v[34:37], v[138:141]// 000000008D5C: D3B5008A 0E2A45A8
	v_mfma_f32_16x16x32_bf16 v[142:145], a[172:175], v[34:37], v[142:145]// 000000008D64: D3B5008E 0E3A45AC
	v_mfma_f32_16x16x32_bf16 v[146:149], a[176:179], v[34:37], v[146:149]// 000000008D6C: D3B50092 0E4A45B0
	v_mfma_f32_16x16x32_bf16 v[150:153], a[180:183], v[34:37], v[150:153]// 000000008D74: D3B50096 0E5A45B4
	v_mfma_f32_16x16x32_bf16 v[154:157], a[184:187], v[34:37], v[154:157]// 000000008D7C: D3B5009A 0E6A45B8
	v_mfma_f32_16x16x32_bf16 v[158:161], a[188:191], v[34:37], v[158:161]// 000000008D84: D3B5009E 0E7A45BC
	v_mfma_f32_16x16x32_bf16 v[162:165], a[192:195], v[34:37], v[162:165]// 000000008D8C: D3B500A2 0E8A45C0
	v_mfma_f32_16x16x32_bf16 v[166:169], a[196:199], v[34:37], v[166:169]// 000000008D94: D3B500A6 0E9A45C4
	v_mfma_f32_16x16x32_bf16 v[170:173], a[200:203], v[34:37], v[170:173]// 000000008D9C: D3B500AA 0EAA45C8
	v_mfma_f32_16x16x32_bf16 v[174:177], a[204:207], v[34:37], v[174:177]// 000000008DA4: D3B500AE 0EBA45CC
	ds_read_b64_tr_b16 a[144:145], v14                         // 000000008DAC: DBC60000 9000000E
	ds_read_b64_tr_b16 a[146:147], v14 offset:256              // 000000008DB4: DBC60100 9200000E
	ds_read_b64_tr_b16 a[148:149], v15                         // 000000008DBC: DBC60000 9400000F
	ds_read_b64_tr_b16 a[150:151], v15 offset:256              // 000000008DC4: DBC60100 9600000F
	ds_read_b64_tr_b16 a[152:153], v14 offset:1024             // 000000008DCC: DBC60400 9800000E
	ds_read_b64_tr_b16 a[154:155], v14 offset:1280             // 000000008DD4: DBC60500 9A00000E
	ds_read_b64_tr_b16 a[156:157], v15 offset:1024             // 000000008DDC: DBC60400 9C00000F
	ds_read_b64_tr_b16 a[158:159], v15 offset:1280             // 000000008DE4: DBC60500 9E00000F
	ds_read_b64_tr_b16 a[160:161], v14 offset:2048             // 000000008DEC: DBC60800 A000000E
	ds_read_b64_tr_b16 a[162:163], v14 offset:2304             // 000000008DF4: DBC60900 A200000E
	ds_read_b64_tr_b16 a[164:165], v15 offset:2048             // 000000008DFC: DBC60800 A400000F
	ds_read_b64_tr_b16 a[166:167], v15 offset:2304             // 000000008E04: DBC60900 A600000F
	ds_read_b64_tr_b16 a[168:169], v14 offset:3072             // 000000008E0C: DBC60C00 A800000E
	ds_read_b64_tr_b16 a[170:171], v14 offset:3328             // 000000008E14: DBC60D00 AA00000E
	ds_read_b64_tr_b16 a[172:173], v15 offset:3072             // 000000008E1C: DBC60C00 AC00000F
	ds_read_b64_tr_b16 a[174:175], v15 offset:3328             // 000000008E24: DBC60D00 AE00000F
	ds_read_b64_tr_b16 a[176:177], v14 offset:4096             // 000000008E2C: DBC61000 B000000E
	ds_read_b64_tr_b16 a[178:179], v14 offset:4352             // 000000008E34: DBC61100 B200000E
	ds_read_b64_tr_b16 a[180:181], v15 offset:4096             // 000000008E3C: DBC61000 B400000F
	ds_read_b64_tr_b16 a[182:183], v15 offset:4352             // 000000008E44: DBC61100 B600000F
	ds_read_b64_tr_b16 a[184:185], v14 offset:5120             // 000000008E4C: DBC61400 B800000E
	ds_read_b64_tr_b16 a[186:187], v14 offset:5376             // 000000008E54: DBC61500 BA00000E
	ds_read_b64_tr_b16 a[188:189], v15 offset:5120             // 000000008E5C: DBC61400 BC00000F
	ds_read_b64_tr_b16 a[190:191], v15 offset:5376             // 000000008E64: DBC61500 BE00000F
	ds_read_b64_tr_b16 a[192:193], v14 offset:6144             // 000000008E6C: DBC61800 C000000E
	ds_read_b64_tr_b16 a[194:195], v14 offset:6400             // 000000008E74: DBC61900 C200000E
	ds_read_b64_tr_b16 a[196:197], v15 offset:6144             // 000000008E7C: DBC61800 C400000F
	ds_read_b64_tr_b16 a[198:199], v15 offset:6400             // 000000008E84: DBC61900 C600000F
	ds_read_b64_tr_b16 a[200:201], v14 offset:7168             // 000000008E8C: DBC61C00 C800000E
	ds_read_b64_tr_b16 a[202:203], v14 offset:7424             // 000000008E94: DBC61D00 CA00000E
	ds_read_b64_tr_b16 a[204:205], v15 offset:7168             // 000000008E9C: DBC61C00 CC00000F
	ds_read_b64_tr_b16 a[206:207], v15 offset:7424             // 000000008EA4: DBC61D00 CE00000F
	v_mov_b32_e32 v30, v16                                     // 000000008EAC: 7E3C0310
	v_mov_b32_e32 v31, v16                                     // 000000008EB0: 7E3E0310
	v_pk_mul_f32 v[50:51], v[30:31], v[50:51]                  // 000000008EB4: D3B14032 1802651E
	v_pk_mul_f32 v[52:53], v[30:31], v[52:53]                  // 000000008EBC: D3B14034 1802691E
	v_pk_mul_f32 v[54:55], v[30:31], v[54:55]                  // 000000008EC4: D3B14036 18026D1E
	v_pk_mul_f32 v[56:57], v[30:31], v[56:57]                  // 000000008ECC: D3B14038 1802711E
	v_pk_mul_f32 v[58:59], v[30:31], v[58:59]                  // 000000008ED4: D3B1403A 1802751E
	v_pk_mul_f32 v[60:61], v[30:31], v[60:61]                  // 000000008EDC: D3B1403C 1802791E
	v_pk_mul_f32 v[62:63], v[30:31], v[62:63]                  // 000000008EE4: D3B1403E 18027D1E
	v_pk_mul_f32 v[64:65], v[30:31], v[64:65]                  // 000000008EEC: D3B14040 1802811E
	v_pk_mul_f32 v[66:67], v[30:31], v[66:67]                  // 000000008EF4: D3B14042 1802851E
	v_pk_mul_f32 v[68:69], v[30:31], v[68:69]                  // 000000008EFC: D3B14044 1802891E
	v_pk_mul_f32 v[70:71], v[30:31], v[70:71]                  // 000000008F04: D3B14046 18028D1E
	v_pk_mul_f32 v[72:73], v[30:31], v[72:73]                  // 000000008F0C: D3B14048 1802911E
	v_pk_mul_f32 v[74:75], v[30:31], v[74:75]                  // 000000008F14: D3B1404A 1802951E
	v_pk_mul_f32 v[76:77], v[30:31], v[76:77]                  // 000000008F1C: D3B1404C 1802991E
	v_pk_mul_f32 v[78:79], v[30:31], v[78:79]                  // 000000008F24: D3B1404E 18029D1E
	v_pk_mul_f32 v[80:81], v[30:31], v[80:81]                  // 000000008F2C: D3B14050 1802A11E
	v_pk_mul_f32 v[82:83], v[30:31], v[82:83]                  // 000000008F34: D3B14052 1802A51E
	v_pk_mul_f32 v[84:85], v[30:31], v[84:85]                  // 000000008F3C: D3B14054 1802A91E
	v_pk_mul_f32 v[86:87], v[30:31], v[86:87]                  // 000000008F44: D3B14056 1802AD1E
	v_pk_mul_f32 v[88:89], v[30:31], v[88:89]                  // 000000008F4C: D3B14058 1802B11E
	v_pk_mul_f32 v[90:91], v[30:31], v[90:91]                  // 000000008F54: D3B1405A 1802B51E
	v_pk_mul_f32 v[92:93], v[30:31], v[92:93]                  // 000000008F5C: D3B1405C 1802B91E
	v_pk_mul_f32 v[94:95], v[30:31], v[94:95]                  // 000000008F64: D3B1405E 1802BD1E
	v_pk_mul_f32 v[96:97], v[30:31], v[96:97]                  // 000000008F6C: D3B14060 1802C11E
	v_pk_mul_f32 v[98:99], v[30:31], v[98:99]                  // 000000008F74: D3B14062 1802C51E
	v_pk_mul_f32 v[100:101], v[30:31], v[100:101]              // 000000008F7C: D3B14064 1802C91E
	v_pk_mul_f32 v[102:103], v[30:31], v[102:103]              // 000000008F84: D3B14066 1802CD1E
	v_pk_mul_f32 v[104:105], v[30:31], v[104:105]              // 000000008F8C: D3B14068 1802D11E
	v_pk_mul_f32 v[106:107], v[30:31], v[106:107]              // 000000008F94: D3B1406A 1802D51E
	v_pk_mul_f32 v[108:109], v[30:31], v[108:109]              // 000000008F9C: D3B1406C 1802D91E
	v_pk_mul_f32 v[110:111], v[30:31], v[110:111]              // 000000008FA4: D3B1406E 1802DD1E
	v_pk_mul_f32 v[112:113], v[30:31], v[112:113]              // 000000008FAC: D3B14070 1802E11E
	v_pk_mul_f32 v[114:115], v[30:31], v[114:115]              // 000000008FB4: D3B14072 1802E51E
	v_pk_mul_f32 v[116:117], v[30:31], v[116:117]              // 000000008FBC: D3B14074 1802E91E
	v_pk_mul_f32 v[118:119], v[30:31], v[118:119]              // 000000008FC4: D3B14076 1802ED1E
	v_pk_mul_f32 v[120:121], v[30:31], v[120:121]              // 000000008FCC: D3B14078 1802F11E
	v_pk_mul_f32 v[122:123], v[30:31], v[122:123]              // 000000008FD4: D3B1407A 1802F51E
	v_pk_mul_f32 v[124:125], v[30:31], v[124:125]              // 000000008FDC: D3B1407C 1802F91E
	v_pk_mul_f32 v[126:127], v[30:31], v[126:127]              // 000000008FE4: D3B1407E 1802FD1E
	v_pk_mul_f32 v[128:129], v[30:31], v[128:129]              // 000000008FEC: D3B14080 1803011E
	v_pk_mul_f32 v[130:131], v[30:31], v[130:131]              // 000000008FF4: D3B14082 1803051E
	v_pk_mul_f32 v[132:133], v[30:31], v[132:133]              // 000000008FFC: D3B14084 1803091E
	v_pk_mul_f32 v[134:135], v[30:31], v[134:135]              // 000000009004: D3B14086 18030D1E
	v_pk_mul_f32 v[136:137], v[30:31], v[136:137]              // 00000000900C: D3B14088 1803111E
	v_pk_mul_f32 v[138:139], v[30:31], v[138:139]              // 000000009014: D3B1408A 1803151E
	v_pk_mul_f32 v[140:141], v[30:31], v[140:141]              // 00000000901C: D3B1408C 1803191E
	v_pk_mul_f32 v[142:143], v[30:31], v[142:143]              // 000000009024: D3B1408E 18031D1E
	v_pk_mul_f32 v[144:145], v[30:31], v[144:145]              // 00000000902C: D3B14090 1803211E
	v_pk_mul_f32 v[146:147], v[30:31], v[146:147]              // 000000009034: D3B14092 1803251E
	v_pk_mul_f32 v[148:149], v[30:31], v[148:149]              // 00000000903C: D3B14094 1803291E
	v_pk_mul_f32 v[150:151], v[30:31], v[150:151]              // 000000009044: D3B14096 18032D1E
	v_pk_mul_f32 v[152:153], v[30:31], v[152:153]              // 00000000904C: D3B14098 1803311E
	v_pk_mul_f32 v[154:155], v[30:31], v[154:155]              // 000000009054: D3B1409A 1803351E
	v_pk_mul_f32 v[156:157], v[30:31], v[156:157]              // 00000000905C: D3B1409C 1803391E
	v_pk_mul_f32 v[158:159], v[30:31], v[158:159]              // 000000009064: D3B1409E 18033D1E
	v_pk_mul_f32 v[160:161], v[30:31], v[160:161]              // 00000000906C: D3B140A0 1803411E
	v_pk_mul_f32 v[162:163], v[30:31], v[162:163]              // 000000009074: D3B140A2 1803451E
	v_pk_mul_f32 v[164:165], v[30:31], v[164:165]              // 00000000907C: D3B140A4 1803491E
	v_pk_mul_f32 v[166:167], v[30:31], v[166:167]              // 000000009084: D3B140A6 18034D1E
	v_pk_mul_f32 v[168:169], v[30:31], v[168:169]              // 00000000908C: D3B140A8 1803511E
	v_pk_mul_f32 v[170:171], v[30:31], v[170:171]              // 000000009094: D3B140AA 1803551E
	v_pk_mul_f32 v[172:173], v[30:31], v[172:173]              // 00000000909C: D3B140AC 1803591E
	v_pk_mul_f32 v[174:175], v[30:31], v[174:175]              // 0000000090A4: D3B140AE 18035D1E
	v_pk_mul_f32 v[176:177], v[30:31], v[176:177]              // 0000000090AC: D3B140B0 1803611E
	s_waitcnt lgkmcnt(4)                                       // 0000000090B4: BF8CC47F
	v_mfma_f32_16x16x32_bf16 v[50:53], a[144:147], v[42:45], v[50:53]// 0000000090B8: D3B50032 0CCA5590
	v_mfma_f32_16x16x32_bf16 v[54:57], a[148:151], v[42:45], v[54:57]// 0000000090C0: D3B50036 0CDA5594
	v_mfma_f32_16x16x32_bf16 v[58:61], a[152:155], v[42:45], v[58:61]// 0000000090C8: D3B5003A 0CEA5598
	v_mfma_f32_16x16x32_bf16 v[62:65], a[156:159], v[42:45], v[62:65]// 0000000090D0: D3B5003E 0CFA559C
	v_mfma_f32_16x16x32_bf16 v[66:69], a[160:163], v[42:45], v[66:69]// 0000000090D8: D3B50042 0D0A55A0
	v_mfma_f32_16x16x32_bf16 v[70:73], a[164:167], v[42:45], v[70:73]// 0000000090E0: D3B50046 0D1A55A4
	v_mfma_f32_16x16x32_bf16 v[74:77], a[168:171], v[42:45], v[74:77]// 0000000090E8: D3B5004A 0D2A55A8
	v_mfma_f32_16x16x32_bf16 v[78:81], a[172:175], v[42:45], v[78:81]// 0000000090F0: D3B5004E 0D3A55AC
	v_mfma_f32_16x16x32_bf16 v[82:85], a[176:179], v[42:45], v[82:85]// 0000000090F8: D3B50052 0D4A55B0
	v_mfma_f32_16x16x32_bf16 v[86:89], a[180:183], v[42:45], v[86:89]// 000000009100: D3B50056 0D5A55B4
	v_mfma_f32_16x16x32_bf16 v[90:93], a[184:187], v[42:45], v[90:93]// 000000009108: D3B5005A 0D6A55B8
	v_mfma_f32_16x16x32_bf16 v[94:97], a[188:191], v[42:45], v[94:97]// 000000009110: D3B5005E 0D7A55BC
	v_mfma_f32_16x16x32_bf16 v[98:101], a[192:195], v[42:45], v[98:101]// 000000009118: D3B50062 0D8A55C0
	v_mfma_f32_16x16x32_bf16 v[102:105], a[196:199], v[42:45], v[102:105]// 000000009120: D3B50066 0D9A55C4
	v_mfma_f32_16x16x32_bf16 v[106:109], a[200:203], v[42:45], v[106:109]// 000000009128: D3B5006A 0DAA55C8
	v_mfma_f32_16x16x32_bf16 v[110:113], a[204:207], v[42:45], v[110:113]// 000000009130: D3B5006E 0DBA55CC
	ds_read_b64_tr_b16 a[144:145], v14 offset:8192             // 000000009138: DBC62000 9000000E
	ds_read_b64_tr_b16 a[146:147], v14 offset:8448             // 000000009140: DBC62100 9200000E
	ds_read_b64_tr_b16 a[148:149], v15 offset:8192             // 000000009148: DBC62000 9400000F
	ds_read_b64_tr_b16 a[150:151], v15 offset:8448             // 000000009150: DBC62100 9600000F
	ds_read_b64_tr_b16 a[152:153], v14 offset:9216             // 000000009158: DBC62400 9800000E
	ds_read_b64_tr_b16 a[154:155], v14 offset:9472             // 000000009160: DBC62500 9A00000E
	ds_read_b64_tr_b16 a[156:157], v15 offset:9216             // 000000009168: DBC62400 9C00000F
	ds_read_b64_tr_b16 a[158:159], v15 offset:9472             // 000000009170: DBC62500 9E00000F
	ds_read_b64_tr_b16 a[160:161], v14 offset:10240            // 000000009178: DBC62800 A000000E
	ds_read_b64_tr_b16 a[162:163], v14 offset:10496            // 000000009180: DBC62900 A200000E
	ds_read_b64_tr_b16 a[164:165], v15 offset:10240            // 000000009188: DBC62800 A400000F
	ds_read_b64_tr_b16 a[166:167], v15 offset:10496            // 000000009190: DBC62900 A600000F
	ds_read_b64_tr_b16 a[168:169], v14 offset:11264            // 000000009198: DBC62C00 A800000E
	ds_read_b64_tr_b16 a[170:171], v14 offset:11520            // 0000000091A0: DBC62D00 AA00000E
	ds_read_b64_tr_b16 a[172:173], v15 offset:11264            // 0000000091A8: DBC62C00 AC00000F
	ds_read_b64_tr_b16 a[174:175], v15 offset:11520            // 0000000091B0: DBC62D00 AE00000F
	ds_read_b64_tr_b16 a[176:177], v14 offset:12288            // 0000000091B8: DBC63000 B000000E
	ds_read_b64_tr_b16 a[178:179], v14 offset:12544            // 0000000091C0: DBC63100 B200000E
	ds_read_b64_tr_b16 a[180:181], v15 offset:12288            // 0000000091C8: DBC63000 B400000F
	ds_read_b64_tr_b16 a[182:183], v15 offset:12544            // 0000000091D0: DBC63100 B600000F
	ds_read_b64_tr_b16 a[184:185], v14 offset:13312            // 0000000091D8: DBC63400 B800000E
	ds_read_b64_tr_b16 a[186:187], v14 offset:13568            // 0000000091E0: DBC63500 BA00000E
	ds_read_b64_tr_b16 a[188:189], v15 offset:13312            // 0000000091E8: DBC63400 BC00000F
	ds_read_b64_tr_b16 a[190:191], v15 offset:13568            // 0000000091F0: DBC63500 BE00000F
	ds_read_b64_tr_b16 a[192:193], v14 offset:14336            // 0000000091F8: DBC63800 C000000E
	ds_read_b64_tr_b16 a[194:195], v14 offset:14592            // 000000009200: DBC63900 C200000E
	ds_read_b64_tr_b16 a[196:197], v15 offset:14336            // 000000009208: DBC63800 C400000F
	ds_read_b64_tr_b16 a[198:199], v15 offset:14592            // 000000009210: DBC63900 C600000F
	ds_read_b64_tr_b16 a[200:201], v14 offset:15360            // 000000009218: DBC63C00 C800000E
	ds_read_b64_tr_b16 a[202:203], v14 offset:15616            // 000000009220: DBC63D00 CA00000E
	ds_read_b64_tr_b16 a[204:205], v15 offset:15360            // 000000009228: DBC63C00 CC00000F
	ds_read_b64_tr_b16 a[206:207], v15 offset:15616            // 000000009230: DBC63D00 CE00000F
	s_waitcnt vmcnt(0)                                         // 000000009238: BF8C0F70
	s_barrier                                                  // 00000000923C: BF8A0000
	s_waitcnt lgkmcnt(0)                                       // 000000009240: BF8CC07F
	v_mfma_f32_16x16x32_bf16 v[114:117], a[144:147], v[42:45], v[114:117]// 000000009244: D3B50072 0DCA5590
	ds_read_b128 a[72:75], v18                                 // 00000000924C: DBFE0000 48000012
	ds_read_b128 a[76:79], v18 offset:1024                     // 000000009254: DBFE0400 4C000012
	v_mfma_f32_16x16x32_bf16 v[118:121], a[148:151], v[42:45], v[118:121]// 00000000925C: D3B50076 0DDA5594
	ds_read_b128 a[80:83], v18 offset:2048                     // 000000009264: DBFE0800 50000012
	ds_read_b128 a[84:87], v18 offset:3072                     // 00000000926C: DBFE0C00 54000012
	v_mfma_f32_16x16x32_bf16 v[122:125], a[152:155], v[42:45], v[122:125]// 000000009274: D3B5007A 0DEA5598
	ds_read_b128 a[88:91], v18 offset:4096                     // 00000000927C: DBFE1000 58000012
	ds_read_b128 a[92:95], v18 offset:5120                     // 000000009284: DBFE1400 5C000012
	v_mfma_f32_16x16x32_bf16 v[126:129], a[156:159], v[42:45], v[126:129]// 00000000928C: D3B5007E 0DFA559C
	ds_read_b128 a[96:99], v18 offset:6144                     // 000000009294: DBFE1800 60000012
	ds_read_b128 a[100:103], v18 offset:7168                   // 00000000929C: DBFE1C00 64000012
	v_mfma_f32_16x16x32_bf16 v[130:133], a[160:163], v[42:45], v[130:133]// 0000000092A4: D3B50082 0E0A55A0
	ds_read_b128 a[104:107], v18 offset:8192                   // 0000000092AC: DBFE2000 68000012
	ds_read_b128 a[108:111], v18 offset:9216                   // 0000000092B4: DBFE2400 6C000012
	v_mfma_f32_16x16x32_bf16 v[134:137], a[164:167], v[42:45], v[134:137]// 0000000092BC: D3B50086 0E1A55A4
	ds_read_b128 a[112:115], v18 offset:10240                  // 0000000092C4: DBFE2800 70000012
	ds_read_b128 a[116:119], v18 offset:11264                  // 0000000092CC: DBFE2C00 74000012
	v_mfma_f32_16x16x32_bf16 v[138:141], a[168:171], v[42:45], v[138:141]// 0000000092D4: D3B5008A 0E2A55A8
	ds_read_b128 a[120:123], v18 offset:12288                  // 0000000092DC: DBFE3000 78000012
	ds_read_b128 a[124:127], v18 offset:13312                  // 0000000092E4: DBFE3400 7C000012
	v_mfma_f32_16x16x32_bf16 v[142:145], a[172:175], v[42:45], v[142:145]// 0000000092EC: D3B5008E 0E3A55AC
	ds_read_b128 a[128:131], v18 offset:14336                  // 0000000092F4: DBFE3800 80000012
	ds_read_b128 a[132:135], v18 offset:15360                  // 0000000092FC: DBFE3C00 84000012
	v_mfma_f32_16x16x32_bf16 v[146:149], a[176:179], v[42:45], v[146:149]// 000000009304: D3B50092 0E4A55B0
	ds_read_b128 a[136:139], v18 offset:16384                  // 00000000930C: DBFE4000 88000012
	ds_read_b128 a[140:143], v18 offset:17408                  // 000000009314: DBFE4400 8C000012
	v_mfma_f32_16x16x32_bf16 v[150:153], a[180:183], v[42:45], v[150:153]// 00000000931C: D3B50096 0E5A55B4
	v_mfma_f32_16x16x32_bf16 v[154:157], a[184:187], v[42:45], v[154:157]// 000000009324: D3B5009A 0E6A55B8
	v_mfma_f32_16x16x32_bf16 v[158:161], a[188:191], v[42:45], v[158:161]// 00000000932C: D3B5009E 0E7A55BC
	v_mfma_f32_16x16x32_bf16 v[162:165], a[192:195], v[42:45], v[162:165]// 000000009334: D3B500A2 0E8A55C0
	v_mfma_f32_16x16x32_bf16 v[166:169], a[196:199], v[42:45], v[166:169]// 00000000933C: D3B500A6 0E9A55C4
	v_mfma_f32_16x16x32_bf16 v[170:173], a[200:203], v[42:45], v[170:173]// 000000009344: D3B500AA 0EAA55C8
	v_mfma_f32_16x16x32_bf16 v[174:177], a[204:207], v[42:45], v[174:177]// 00000000934C: D3B500AE 0EBA55CC
	s_branch label_8CB8                                        // 000000009354: BF820798

0000000000009358 <label_6E58>:
	s_sub_u32 s56, s71, 2                                      // 000000009358: 80B88247
	s_mul_i32 s56, s84, s56                                    // 00000000935C: 92383854
	s_add_u32 s83, s56, s83                                    // 000000009360: 80535338
	s_cmp_le_i32 s83, s82                                      // 000000009364: BF055253
	s_cbranch_scc1 label_6F74                                  // 000000009368: BF850042
	v_mov_b32_e32 v28, s82                                     // 00000000936C: 7E380252
	s_cmp_eq_i32 s81, 1                                        // 000000009370: BF008151
	s_cbranch_scc1 label_6E90                                  // 000000009374: BF850006
	s_cmp_eq_i32 s81, 2                                        // 000000009378: BF008251
	s_cbranch_scc1 label_6E88                                  // 00000000937C: BF850002
	v_add_u32_e32 v28, s7, v28                                 // 000000009380: 68383807
	s_branch label_6E90                                        // 000000009384: BF820002

0000000000009388 <label_6E88>:
	s_lshr_b32 s56, s7, 1                                      // 000000009388: 8F388107
	v_add_u32_e32 v28, s56, v28                                // 00000000938C: 68383838

0000000000009390 <label_6E90>:
	s_sub_u32 s56, s83, 31                                     // 000000009390: 80B89F53
	v_lshrrev_b32_e32 v18, 4, v0                               // 000000009394: 20240084
	v_mul_i32_i24_e32 v18, 4, v18                              // 000000009398: 0C242484
	v_add_u32_e32 v18, s56, v18                                // 00000000939C: 68242438
	v_add_u32_e32 v19, 1, v18                                  // 0000000093A0: 68262481
	v_add_u32_e32 v20, 2, v18                                  // 0000000093A4: 68282482
	v_add_u32_e32 v21, 3, v18                                  // 0000000093A8: 682A2483
	v_mov_b32_e32 v29, 0xff800000                              // 0000000093AC: 7E3A02FF FF800000
	v_cmp_le_u32_e64 s[36:37], v18, v28                        // 0000000093B4: D0CB0024 00023912
	v_add_u32_e32 v18, 16, v18                                 // 0000000093BC: 68242490
	s_nop 0                                                    // 0000000093C0: BF800000
	v_cndmask_b32_e64 v34, v29, v34, s[36:37]                  // 0000000093C4: D1000022 0092451D
	v_cmp_le_u32_e64 s[36:37], v19, v28                        // 0000000093CC: D0CB0024 00023913
	v_add_u32_e32 v19, 16, v19                                 // 0000000093D4: 68262690
	s_nop 0                                                    // 0000000093D8: BF800000
	v_cndmask_b32_e64 v35, v29, v35, s[36:37]                  // 0000000093DC: D1000023 0092471D
	v_cmp_le_u32_e64 s[36:37], v20, v28                        // 0000000093E4: D0CB0024 00023914
	v_add_u32_e32 v20, 16, v20                                 // 0000000093EC: 68282890
	s_nop 0                                                    // 0000000093F0: BF800000
	v_cndmask_b32_e64 v36, v29, v36, s[36:37]                  // 0000000093F4: D1000024 0092491D
	v_cmp_le_u32_e64 s[36:37], v21, v28                        // 0000000093FC: D0CB0024 00023915
	v_add_u32_e32 v21, 16, v21                                 // 000000009404: 682A2A90
	s_nop 0                                                    // 000000009408: BF800000
	v_cndmask_b32_e64 v37, v29, v37, s[36:37]                  // 00000000940C: D1000025 00924B1D
	v_cmp_le_u32_e64 s[36:37], v18, v28                        // 000000009414: D0CB0024 00023912
	v_add_u32_e32 v18, 16, v18                                 // 00000000941C: 68242490
	s_nop 0                                                    // 000000009420: BF800000
	v_cndmask_b32_e64 v38, v29, v38, s[36:37]                  // 000000009424: D1000026 00924D1D
	v_cmp_le_u32_e64 s[36:37], v19, v28                        // 00000000942C: D0CB0024 00023913
	v_add_u32_e32 v19, 16, v19                                 // 000000009434: 68262690
	s_nop 0                                                    // 000000009438: BF800000
	v_cndmask_b32_e64 v39, v29, v39, s[36:37]                  // 00000000943C: D1000027 00924F1D
	v_cmp_le_u32_e64 s[36:37], v20, v28                        // 000000009444: D0CB0024 00023914
	v_add_u32_e32 v20, 16, v20                                 // 00000000944C: 68282890
	s_nop 0                                                    // 000000009450: BF800000
	v_cndmask_b32_e64 v40, v29, v40, s[36:37]                  // 000000009454: D1000028 0092511D
	v_cmp_le_u32_e64 s[36:37], v21, v28                        // 00000000945C: D0CB0024 00023915
	v_add_u32_e32 v21, 16, v21                                 // 000000009464: 682A2A90
	s_nop 0                                                    // 000000009468: BF800000
	v_cndmask_b32_e64 v41, v29, v41, s[36:37]                  // 00000000946C: D1000029 0092531D

0000000000009474 <label_6F74>:
	s_add_u32 s83, s84, s83                                    // 000000009474: 80535354
	s_nop 2                                                    // 000000009478: BF800002
	v_mov_b32_e32 v29, v34                                     // 00000000947C: 7E3A0322
	v_max3_f32 v29, v34, v35, v29                              // 000000009480: D1D3001D 04764722
	v_max3_f32 v29, v36, v37, v29                              // 000000009488: D1D3001D 04764B24
	v_max3_f32 v29, v38, v39, v29                              // 000000009490: D1D3001D 04764F26
	v_max3_f32 v29, v40, v41, v29                              // 000000009498: D1D3001D 04765328
	v_mov_b32_e32 v28, v29                                     // 0000000094A0: 7E38031D
	v_mov_b32_e32 v29, v29                                     // 0000000094A4: 7E3A031D
	s_nop 1                                                    // 0000000094A8: BF800001
	v_permlane16_swap_b32_e32 v28, v29                         // 0000000094AC: 7E38B31D
	v_mov_b32_e32 v31, v28                                     // 0000000094B0: 7E3E031C
	v_mov_b32_e32 v30, v29                                     // 0000000094B4: 7E3C031D
	s_nop 1                                                    // 0000000094B8: BF800001
	v_permlane32_swap_b32_e32 v28, v29                         // 0000000094BC: 7E38B51D
	v_permlane32_swap_b32_e32 v30, v31                         // 0000000094C0: 7E3CB51F
	v_max3_f32 v29, v28, v29, v29                              // 0000000094C4: D1D3001D 04763B1C
	v_max3_f32 v29, v30, v31, v29                              // 0000000094CC: D1D3001D 04763F1E
	v_mov_b32_e32 v28, 0xff800000                              // 0000000094D4: 7E3802FF FF800000
	v_cmp_eq_u32_e64 s[36:37], v28, v2                         // 0000000094DC: D0CA0024 0002051C
	v_max_f32_e32 v29, v29, v2                                 // 0000000094E4: 163A051D
	v_sub_f32_e32 v16, v2, v29                                 // 0000000094E8: 04203B02
	v_cndmask_b32_e64 v16, v16, 0, s[36:37]                    // 0000000094EC: D1000010 00910110
	v_mov_b32_e32 v2, v29                                      // 0000000094F4: 7E04031D
	v_mul_f32_e32 v29, s5, v29                                 // 0000000094F8: 0A3A3A05
	v_mul_f32_e32 v16, s5, v16                                 // 0000000094FC: 0A202005
	v_exp_f32_e32 v16, v16                                     // 000000009500: 7E204110
	v_fma_f32 v34, v34, s5, -v29                               // 000000009504: D1CB0022 84740B22
	v_fma_f32 v35, v35, s5, -v29                               // 00000000950C: D1CB0023 84740B23
	v_fma_f32 v36, v36, s5, -v29                               // 000000009514: D1CB0024 84740B24
	v_fma_f32 v37, v37, s5, -v29                               // 00000000951C: D1CB0025 84740B25
	v_fma_f32 v38, v38, s5, -v29                               // 000000009524: D1CB0026 84740B26
	v_fma_f32 v39, v39, s5, -v29                               // 00000000952C: D1CB0027 84740B27
	v_fma_f32 v40, v40, s5, -v29                               // 000000009534: D1CB0028 84740B28
	v_fma_f32 v41, v41, s5, -v29                               // 00000000953C: D1CB0029 84740B29
	v_exp_f32_e32 v34, v34                                     // 000000009544: 7E444122
	v_exp_f32_e32 v35, v35                                     // 000000009548: 7E464123
	v_exp_f32_e32 v36, v36                                     // 00000000954C: 7E484124
	v_exp_f32_e32 v37, v37                                     // 000000009550: 7E4A4125
	v_exp_f32_e32 v38, v38                                     // 000000009554: 7E4C4126
	v_exp_f32_e32 v39, v39                                     // 000000009558: 7E4E4127
	v_exp_f32_e32 v40, v40                                     // 00000000955C: 7E504128
	v_exp_f32_e32 v41, v41                                     // 000000009560: 7E524129
	v_mul_f32_e32 v4, v16, v4                                  // 000000009564: 0A080910
	v_mov_b32_e32 v28, v34                                     // 000000009568: 7E380322
	v_add_f32_e32 v28, v35, v28                                // 00000000956C: 02383923
	v_add_f32_e32 v28, v36, v28                                // 000000009570: 02383924
	v_add_f32_e32 v28, v37, v28                                // 000000009574: 02383925
	;; [unrolled: 1-line block ×3, first 2 shown]
	v_add_f32_e32 v28, v39, v28                                // 00000000957C: 02383927
	v_add_f32_e32 v28, v40, v28                                // 000000009580: 02383928
	v_add_f32_e32 v28, v41, v28                                // 000000009584: 02383929
	v_add_f32_e32 v4, v28, v4                                  // 000000009588: 0208091C
	v_cvt_pk_bf16_f32 v34, v34, v35                            // 00000000958C: D2680022 00024722
	v_cvt_pk_bf16_f32 v35, v36, v37                            // 000000009594: D2680023 00024B24
	v_cvt_pk_bf16_f32 v36, v38, v39                            // 00000000959C: D2680024 00024F26
	v_cvt_pk_bf16_f32 v37, v40, v41                            // 0000000095A4: D2680025 00025328
	s_nop 0                                                    // 0000000095AC: BF800000
	v_permlane32_swap_b32_e32 v34, v36                         // 0000000095B0: 7E44B524
	v_permlane32_swap_b32_e32 v35, v37                         // 0000000095B4: 7E46B525
	s_nop 0                                                    // 0000000095B8: BF800000
	v_permlane16_swap_b32_e32 v34, v36                         // 0000000095BC: 7E44B324
	v_permlane16_swap_b32_e32 v35, v37                         // 0000000095C0: 7E46B325
	s_waitcnt lgkmcnt(4)                                       // 0000000095C4: BF8CC47F
	v_mfma_f32_16x16x32_bf16 v[50:53], a[144:147], v[42:45], v[50:53]// 0000000095C8: D3B50032 0CCA5590
	v_mfma_f32_16x16x32_bf16 v[54:57], a[148:151], v[42:45], v[54:57]// 0000000095D0: D3B50036 0CDA5594
	v_mfma_f32_16x16x32_bf16 v[58:61], a[152:155], v[42:45], v[58:61]// 0000000095D8: D3B5003A 0CEA5598
	v_mfma_f32_16x16x32_bf16 v[62:65], a[156:159], v[42:45], v[62:65]// 0000000095E0: D3B5003E 0CFA559C
	v_mfma_f32_16x16x32_bf16 v[66:69], a[160:163], v[42:45], v[66:69]// 0000000095E8: D3B50042 0D0A55A0
	v_mfma_f32_16x16x32_bf16 v[70:73], a[164:167], v[42:45], v[70:73]// 0000000095F0: D3B50046 0D1A55A4
	v_mfma_f32_16x16x32_bf16 v[74:77], a[168:171], v[42:45], v[74:77]// 0000000095F8: D3B5004A 0D2A55A8
	v_mfma_f32_16x16x32_bf16 v[78:81], a[172:175], v[42:45], v[78:81]// 000000009600: D3B5004E 0D3A55AC
	v_mfma_f32_16x16x32_bf16 v[82:85], a[176:179], v[42:45], v[82:85]// 000000009608: D3B50052 0D4A55B0
	v_mfma_f32_16x16x32_bf16 v[86:89], a[180:183], v[42:45], v[86:89]// 000000009610: D3B50056 0D5A55B4
	v_mfma_f32_16x16x32_bf16 v[90:93], a[184:187], v[42:45], v[90:93]// 000000009618: D3B5005A 0D6A55B8
	v_mfma_f32_16x16x32_bf16 v[94:97], a[188:191], v[42:45], v[94:97]// 000000009620: D3B5005E 0D7A55BC
	v_mfma_f32_16x16x32_bf16 v[98:101], a[192:195], v[42:45], v[98:101]// 000000009628: D3B50062 0D8A55C0
	v_mfma_f32_16x16x32_bf16 v[102:105], a[196:199], v[42:45], v[102:105]// 000000009630: D3B50066 0D9A55C4
	v_mfma_f32_16x16x32_bf16 v[106:109], a[200:203], v[42:45], v[106:109]// 000000009638: D3B5006A 0DAA55C8
	v_mfma_f32_16x16x32_bf16 v[110:113], a[204:207], v[42:45], v[110:113]// 000000009640: D3B5006E 0DBA55CC
	ds_read_b64_tr_b16 a[144:145], v14 offset:8192             // 000000009648: DBC62000 9000000E
	ds_read_b64_tr_b16 a[146:147], v14 offset:8448             // 000000009650: DBC62100 9200000E
	ds_read_b64_tr_b16 a[148:149], v15 offset:8192             // 000000009658: DBC62000 9400000F
	ds_read_b64_tr_b16 a[150:151], v15 offset:8448             // 000000009660: DBC62100 9600000F
	ds_read_b64_tr_b16 a[152:153], v14 offset:9216             // 000000009668: DBC62400 9800000E
	ds_read_b64_tr_b16 a[154:155], v14 offset:9472             // 000000009670: DBC62500 9A00000E
	ds_read_b64_tr_b16 a[156:157], v15 offset:9216             // 000000009678: DBC62400 9C00000F
	ds_read_b64_tr_b16 a[158:159], v15 offset:9472             // 000000009680: DBC62500 9E00000F
	ds_read_b64_tr_b16 a[160:161], v14 offset:10240            // 000000009688: DBC62800 A000000E
	ds_read_b64_tr_b16 a[162:163], v14 offset:10496            // 000000009690: DBC62900 A200000E
	ds_read_b64_tr_b16 a[164:165], v15 offset:10240            // 000000009698: DBC62800 A400000F
	ds_read_b64_tr_b16 a[166:167], v15 offset:10496            // 0000000096A0: DBC62900 A600000F
	ds_read_b64_tr_b16 a[168:169], v14 offset:11264            // 0000000096A8: DBC62C00 A800000E
	ds_read_b64_tr_b16 a[170:171], v14 offset:11520            // 0000000096B0: DBC62D00 AA00000E
	ds_read_b64_tr_b16 a[172:173], v15 offset:11264            // 0000000096B8: DBC62C00 AC00000F
	ds_read_b64_tr_b16 a[174:175], v15 offset:11520            // 0000000096C0: DBC62D00 AE00000F
	ds_read_b64_tr_b16 a[176:177], v14 offset:12288            // 0000000096C8: DBC63000 B000000E
	ds_read_b64_tr_b16 a[178:179], v14 offset:12544            // 0000000096D0: DBC63100 B200000E
	ds_read_b64_tr_b16 a[180:181], v15 offset:12288            // 0000000096D8: DBC63000 B400000F
	ds_read_b64_tr_b16 a[182:183], v15 offset:12544            // 0000000096E0: DBC63100 B600000F
	ds_read_b64_tr_b16 a[184:185], v14 offset:13312            // 0000000096E8: DBC63400 B800000E
	ds_read_b64_tr_b16 a[186:187], v14 offset:13568            // 0000000096F0: DBC63500 BA00000E
	ds_read_b64_tr_b16 a[188:189], v15 offset:13312            // 0000000096F8: DBC63400 BC00000F
	ds_read_b64_tr_b16 a[190:191], v15 offset:13568            // 000000009700: DBC63500 BE00000F
	ds_read_b64_tr_b16 a[192:193], v14 offset:14336            // 000000009708: DBC63800 C000000E
	ds_read_b64_tr_b16 a[194:195], v14 offset:14592            // 000000009710: DBC63900 C200000E
	ds_read_b64_tr_b16 a[196:197], v15 offset:14336            // 000000009718: DBC63800 C400000F
	ds_read_b64_tr_b16 a[198:199], v15 offset:14592            // 000000009720: DBC63900 C600000F
	ds_read_b64_tr_b16 a[200:201], v14 offset:15360            // 000000009728: DBC63C00 C800000E
	ds_read_b64_tr_b16 a[202:203], v14 offset:15616            // 000000009730: DBC63D00 CA00000E
	ds_read_b64_tr_b16 a[204:205], v15 offset:15360            // 000000009738: DBC63C00 CC00000F
	ds_read_b64_tr_b16 a[206:207], v15 offset:15616            // 000000009740: DBC63D00 CE00000F
	s_waitcnt lgkmcnt(0)                                       // 000000009748: BF8CC07F
	v_mfma_f32_16x16x32_bf16 v[114:117], a[144:147], v[42:45], v[114:117]// 00000000974C: D3B50072 0DCA5590
	v_mfma_f32_16x16x32_bf16 v[118:121], a[148:151], v[42:45], v[118:121]// 000000009754: D3B50076 0DDA5594
	v_mfma_f32_16x16x32_bf16 v[122:125], a[152:155], v[42:45], v[122:125]// 00000000975C: D3B5007A 0DEA5598
	v_mfma_f32_16x16x32_bf16 v[126:129], a[156:159], v[42:45], v[126:129]// 000000009764: D3B5007E 0DFA559C
	v_mfma_f32_16x16x32_bf16 v[130:133], a[160:163], v[42:45], v[130:133]// 00000000976C: D3B50082 0E0A55A0
	v_mfma_f32_16x16x32_bf16 v[134:137], a[164:167], v[42:45], v[134:137]// 000000009774: D3B50086 0E1A55A4
	v_mfma_f32_16x16x32_bf16 v[138:141], a[168:171], v[42:45], v[138:141]// 00000000977C: D3B5008A 0E2A55A8
	v_mfma_f32_16x16x32_bf16 v[142:145], a[172:175], v[42:45], v[142:145]// 000000009784: D3B5008E 0E3A55AC
	v_mfma_f32_16x16x32_bf16 v[146:149], a[176:179], v[42:45], v[146:149]// 00000000978C: D3B50092 0E4A55B0
	v_mfma_f32_16x16x32_bf16 v[150:153], a[180:183], v[42:45], v[150:153]// 000000009794: D3B50096 0E5A55B4
	v_mfma_f32_16x16x32_bf16 v[154:157], a[184:187], v[42:45], v[154:157]// 00000000979C: D3B5009A 0E6A55B8
	v_mfma_f32_16x16x32_bf16 v[158:161], a[188:191], v[42:45], v[158:161]// 0000000097A4: D3B5009E 0E7A55BC
	v_mfma_f32_16x16x32_bf16 v[162:165], a[192:195], v[42:45], v[162:165]// 0000000097AC: D3B500A2 0E8A55C0
	v_mfma_f32_16x16x32_bf16 v[166:169], a[196:199], v[42:45], v[166:169]// 0000000097B4: D3B500A6 0E9A55C4
	v_mfma_f32_16x16x32_bf16 v[170:173], a[200:203], v[42:45], v[170:173]// 0000000097BC: D3B500AA 0EAA55C8
	v_mfma_f32_16x16x32_bf16 v[174:177], a[204:207], v[42:45], v[174:177]// 0000000097C4: D3B500AE 0EBA55CC
	ds_read_b64_tr_b16 a[144:145], v8                          // 0000000097CC: DBC60000 90000008
	ds_read_b64_tr_b16 a[146:147], v8 offset:256               // 0000000097D4: DBC60100 92000008
	ds_read_b64_tr_b16 a[148:149], v9                          // 0000000097DC: DBC60000 94000009
	ds_read_b64_tr_b16 a[150:151], v9 offset:256               // 0000000097E4: DBC60100 96000009
	ds_read_b64_tr_b16 a[152:153], v8 offset:1024              // 0000000097EC: DBC60400 98000008
	ds_read_b64_tr_b16 a[154:155], v8 offset:1280              // 0000000097F4: DBC60500 9A000008
	ds_read_b64_tr_b16 a[156:157], v9 offset:1024              // 0000000097FC: DBC60400 9C000009
	ds_read_b64_tr_b16 a[158:159], v9 offset:1280              // 000000009804: DBC60500 9E000009
	ds_read_b64_tr_b16 a[160:161], v8 offset:2048              // 00000000980C: DBC60800 A0000008
	ds_read_b64_tr_b16 a[162:163], v8 offset:2304              // 000000009814: DBC60900 A2000008
	ds_read_b64_tr_b16 a[164:165], v9 offset:2048              // 00000000981C: DBC60800 A4000009
	ds_read_b64_tr_b16 a[166:167], v9 offset:2304              // 000000009824: DBC60900 A6000009
	ds_read_b64_tr_b16 a[168:169], v8 offset:3072              // 00000000982C: DBC60C00 A8000008
	ds_read_b64_tr_b16 a[170:171], v8 offset:3328              // 000000009834: DBC60D00 AA000008
	ds_read_b64_tr_b16 a[172:173], v9 offset:3072              // 00000000983C: DBC60C00 AC000009
	ds_read_b64_tr_b16 a[174:175], v9 offset:3328              // 000000009844: DBC60D00 AE000009
	ds_read_b64_tr_b16 a[176:177], v8 offset:4096              // 00000000984C: DBC61000 B0000008
	ds_read_b64_tr_b16 a[178:179], v8 offset:4352              // 000000009854: DBC61100 B2000008
	ds_read_b64_tr_b16 a[180:181], v9 offset:4096              // 00000000985C: DBC61000 B4000009
	ds_read_b64_tr_b16 a[182:183], v9 offset:4352              // 000000009864: DBC61100 B6000009
	ds_read_b64_tr_b16 a[184:185], v8 offset:5120              // 00000000986C: DBC61400 B8000008
	ds_read_b64_tr_b16 a[186:187], v8 offset:5376              // 000000009874: DBC61500 BA000008
	ds_read_b64_tr_b16 a[188:189], v9 offset:5120              // 00000000987C: DBC61400 BC000009
	ds_read_b64_tr_b16 a[190:191], v9 offset:5376              // 000000009884: DBC61500 BE000009
	ds_read_b64_tr_b16 a[192:193], v8 offset:6144              // 00000000988C: DBC61800 C0000008
	ds_read_b64_tr_b16 a[194:195], v8 offset:6400              // 000000009894: DBC61900 C2000008
	ds_read_b64_tr_b16 a[196:197], v9 offset:6144              // 00000000989C: DBC61800 C4000009
	ds_read_b64_tr_b16 a[198:199], v9 offset:6400              // 0000000098A4: DBC61900 C6000009
	ds_read_b64_tr_b16 a[200:201], v8 offset:7168              // 0000000098AC: DBC61C00 C8000008
	ds_read_b64_tr_b16 a[202:203], v8 offset:7424              // 0000000098B4: DBC61D00 CA000008
	ds_read_b64_tr_b16 a[204:205], v9 offset:7168              // 0000000098BC: DBC61C00 CC000009
	ds_read_b64_tr_b16 a[206:207], v9 offset:7424              // 0000000098C4: DBC61D00 CE000009
	v_mov_b32_e32 v30, v16                                     // 0000000098CC: 7E3C0310
	v_mov_b32_e32 v31, v16                                     // 0000000098D0: 7E3E0310
	v_pk_mul_f32 v[50:51], v[30:31], v[50:51]                  // 0000000098D4: D3B14032 1802651E
	v_pk_mul_f32 v[52:53], v[30:31], v[52:53]                  // 0000000098DC: D3B14034 1802691E
	v_pk_mul_f32 v[54:55], v[30:31], v[54:55]                  // 0000000098E4: D3B14036 18026D1E
	v_pk_mul_f32 v[56:57], v[30:31], v[56:57]                  // 0000000098EC: D3B14038 1802711E
	v_pk_mul_f32 v[58:59], v[30:31], v[58:59]                  // 0000000098F4: D3B1403A 1802751E
	v_pk_mul_f32 v[60:61], v[30:31], v[60:61]                  // 0000000098FC: D3B1403C 1802791E
	v_pk_mul_f32 v[62:63], v[30:31], v[62:63]                  // 000000009904: D3B1403E 18027D1E
	v_pk_mul_f32 v[64:65], v[30:31], v[64:65]                  // 00000000990C: D3B14040 1802811E
	v_pk_mul_f32 v[66:67], v[30:31], v[66:67]                  // 000000009914: D3B14042 1802851E
	v_pk_mul_f32 v[68:69], v[30:31], v[68:69]                  // 00000000991C: D3B14044 1802891E
	v_pk_mul_f32 v[70:71], v[30:31], v[70:71]                  // 000000009924: D3B14046 18028D1E
	v_pk_mul_f32 v[72:73], v[30:31], v[72:73]                  // 00000000992C: D3B14048 1802911E
	v_pk_mul_f32 v[74:75], v[30:31], v[74:75]                  // 000000009934: D3B1404A 1802951E
	v_pk_mul_f32 v[76:77], v[30:31], v[76:77]                  // 00000000993C: D3B1404C 1802991E
	v_pk_mul_f32 v[78:79], v[30:31], v[78:79]                  // 000000009944: D3B1404E 18029D1E
	v_pk_mul_f32 v[80:81], v[30:31], v[80:81]                  // 00000000994C: D3B14050 1802A11E
	v_pk_mul_f32 v[82:83], v[30:31], v[82:83]                  // 000000009954: D3B14052 1802A51E
	v_pk_mul_f32 v[84:85], v[30:31], v[84:85]                  // 00000000995C: D3B14054 1802A91E
	v_pk_mul_f32 v[86:87], v[30:31], v[86:87]                  // 000000009964: D3B14056 1802AD1E
	v_pk_mul_f32 v[88:89], v[30:31], v[88:89]                  // 00000000996C: D3B14058 1802B11E
	v_pk_mul_f32 v[90:91], v[30:31], v[90:91]                  // 000000009974: D3B1405A 1802B51E
	v_pk_mul_f32 v[92:93], v[30:31], v[92:93]                  // 00000000997C: D3B1405C 1802B91E
	v_pk_mul_f32 v[94:95], v[30:31], v[94:95]                  // 000000009984: D3B1405E 1802BD1E
	v_pk_mul_f32 v[96:97], v[30:31], v[96:97]                  // 00000000998C: D3B14060 1802C11E
	v_pk_mul_f32 v[98:99], v[30:31], v[98:99]                  // 000000009994: D3B14062 1802C51E
	v_pk_mul_f32 v[100:101], v[30:31], v[100:101]              // 00000000999C: D3B14064 1802C91E
	v_pk_mul_f32 v[102:103], v[30:31], v[102:103]              // 0000000099A4: D3B14066 1802CD1E
	v_pk_mul_f32 v[104:105], v[30:31], v[104:105]              // 0000000099AC: D3B14068 1802D11E
	v_pk_mul_f32 v[106:107], v[30:31], v[106:107]              // 0000000099B4: D3B1406A 1802D51E
	v_pk_mul_f32 v[108:109], v[30:31], v[108:109]              // 0000000099BC: D3B1406C 1802D91E
	v_pk_mul_f32 v[110:111], v[30:31], v[110:111]              // 0000000099C4: D3B1406E 1802DD1E
	v_pk_mul_f32 v[112:113], v[30:31], v[112:113]              // 0000000099CC: D3B14070 1802E11E
	v_pk_mul_f32 v[114:115], v[30:31], v[114:115]              // 0000000099D4: D3B14072 1802E51E
	v_pk_mul_f32 v[116:117], v[30:31], v[116:117]              // 0000000099DC: D3B14074 1802E91E
	v_pk_mul_f32 v[118:119], v[30:31], v[118:119]              // 0000000099E4: D3B14076 1802ED1E
	v_pk_mul_f32 v[120:121], v[30:31], v[120:121]              // 0000000099EC: D3B14078 1802F11E
	v_pk_mul_f32 v[122:123], v[30:31], v[122:123]              // 0000000099F4: D3B1407A 1802F51E
	v_pk_mul_f32 v[124:125], v[30:31], v[124:125]              // 0000000099FC: D3B1407C 1802F91E
	v_pk_mul_f32 v[126:127], v[30:31], v[126:127]              // 000000009A04: D3B1407E 1802FD1E
	v_pk_mul_f32 v[128:129], v[30:31], v[128:129]              // 000000009A0C: D3B14080 1803011E
	v_pk_mul_f32 v[130:131], v[30:31], v[130:131]              // 000000009A14: D3B14082 1803051E
	v_pk_mul_f32 v[132:133], v[30:31], v[132:133]              // 000000009A1C: D3B14084 1803091E
	v_pk_mul_f32 v[134:135], v[30:31], v[134:135]              // 000000009A24: D3B14086 18030D1E
	v_pk_mul_f32 v[136:137], v[30:31], v[136:137]              // 000000009A2C: D3B14088 1803111E
	v_pk_mul_f32 v[138:139], v[30:31], v[138:139]              // 000000009A34: D3B1408A 1803151E
	v_pk_mul_f32 v[140:141], v[30:31], v[140:141]              // 000000009A3C: D3B1408C 1803191E
	v_pk_mul_f32 v[142:143], v[30:31], v[142:143]              // 000000009A44: D3B1408E 18031D1E
	v_pk_mul_f32 v[144:145], v[30:31], v[144:145]              // 000000009A4C: D3B14090 1803211E
	v_pk_mul_f32 v[146:147], v[30:31], v[146:147]              // 000000009A54: D3B14092 1803251E
	v_pk_mul_f32 v[148:149], v[30:31], v[148:149]              // 000000009A5C: D3B14094 1803291E
	v_pk_mul_f32 v[150:151], v[30:31], v[150:151]              // 000000009A64: D3B14096 18032D1E
	v_pk_mul_f32 v[152:153], v[30:31], v[152:153]              // 000000009A6C: D3B14098 1803311E
	v_pk_mul_f32 v[154:155], v[30:31], v[154:155]              // 000000009A74: D3B1409A 1803351E
	v_pk_mul_f32 v[156:157], v[30:31], v[156:157]              // 000000009A7C: D3B1409C 1803391E
	v_pk_mul_f32 v[158:159], v[30:31], v[158:159]              // 000000009A84: D3B1409E 18033D1E
	v_pk_mul_f32 v[160:161], v[30:31], v[160:161]              // 000000009A8C: D3B140A0 1803411E
	v_pk_mul_f32 v[162:163], v[30:31], v[162:163]              // 000000009A94: D3B140A2 1803451E
	v_pk_mul_f32 v[164:165], v[30:31], v[164:165]              // 000000009A9C: D3B140A4 1803491E
	v_pk_mul_f32 v[166:167], v[30:31], v[166:167]              // 000000009AA4: D3B140A6 18034D1E
	v_pk_mul_f32 v[168:169], v[30:31], v[168:169]              // 000000009AAC: D3B140A8 1803511E
	v_pk_mul_f32 v[170:171], v[30:31], v[170:171]              // 000000009AB4: D3B140AA 1803551E
	v_pk_mul_f32 v[172:173], v[30:31], v[172:173]              // 000000009ABC: D3B140AC 1803591E
	v_pk_mul_f32 v[174:175], v[30:31], v[174:175]              // 000000009AC4: D3B140AE 18035D1E
	v_pk_mul_f32 v[176:177], v[30:31], v[176:177]              // 000000009ACC: D3B140B0 1803611E
	s_waitcnt lgkmcnt(4)                                       // 000000009AD4: BF8CC47F
	v_mfma_f32_16x16x32_bf16 v[50:53], a[144:147], v[34:37], v[50:53]// 000000009AD8: D3B50032 0CCA4590
	v_mfma_f32_16x16x32_bf16 v[54:57], a[148:151], v[34:37], v[54:57]// 000000009AE0: D3B50036 0CDA4594
	v_mfma_f32_16x16x32_bf16 v[58:61], a[152:155], v[34:37], v[58:61]// 000000009AE8: D3B5003A 0CEA4598
	v_mfma_f32_16x16x32_bf16 v[62:65], a[156:159], v[34:37], v[62:65]// 000000009AF0: D3B5003E 0CFA459C
	v_mfma_f32_16x16x32_bf16 v[66:69], a[160:163], v[34:37], v[66:69]// 000000009AF8: D3B50042 0D0A45A0
	v_mfma_f32_16x16x32_bf16 v[70:73], a[164:167], v[34:37], v[70:73]// 000000009B00: D3B50046 0D1A45A4
	v_mfma_f32_16x16x32_bf16 v[74:77], a[168:171], v[34:37], v[74:77]// 000000009B08: D3B5004A 0D2A45A8
	v_mfma_f32_16x16x32_bf16 v[78:81], a[172:175], v[34:37], v[78:81]// 000000009B10: D3B5004E 0D3A45AC
	v_mfma_f32_16x16x32_bf16 v[82:85], a[176:179], v[34:37], v[82:85]// 000000009B18: D3B50052 0D4A45B0
	v_mfma_f32_16x16x32_bf16 v[86:89], a[180:183], v[34:37], v[86:89]// 000000009B20: D3B50056 0D5A45B4
	v_mfma_f32_16x16x32_bf16 v[90:93], a[184:187], v[34:37], v[90:93]// 000000009B28: D3B5005A 0D6A45B8
	v_mfma_f32_16x16x32_bf16 v[94:97], a[188:191], v[34:37], v[94:97]// 000000009B30: D3B5005E 0D7A45BC
	v_mfma_f32_16x16x32_bf16 v[98:101], a[192:195], v[34:37], v[98:101]// 000000009B38: D3B50062 0D8A45C0
	v_mfma_f32_16x16x32_bf16 v[102:105], a[196:199], v[34:37], v[102:105]// 000000009B40: D3B50066 0D9A45C4
	v_mfma_f32_16x16x32_bf16 v[106:109], a[200:203], v[34:37], v[106:109]// 000000009B48: D3B5006A 0DAA45C8
	v_mfma_f32_16x16x32_bf16 v[110:113], a[204:207], v[34:37], v[110:113]// 000000009B50: D3B5006E 0DBA45CC
	ds_read_b64_tr_b16 a[144:145], v8 offset:8192              // 000000009B58: DBC62000 90000008
	ds_read_b64_tr_b16 a[146:147], v8 offset:8448              // 000000009B60: DBC62100 92000008
	ds_read_b64_tr_b16 a[148:149], v9 offset:8192              // 000000009B68: DBC62000 94000009
	ds_read_b64_tr_b16 a[150:151], v9 offset:8448              // 000000009B70: DBC62100 96000009
	ds_read_b64_tr_b16 a[152:153], v8 offset:9216              // 000000009B78: DBC62400 98000008
	ds_read_b64_tr_b16 a[154:155], v8 offset:9472              // 000000009B80: DBC62500 9A000008
	ds_read_b64_tr_b16 a[156:157], v9 offset:9216              // 000000009B88: DBC62400 9C000009
	ds_read_b64_tr_b16 a[158:159], v9 offset:9472              // 000000009B90: DBC62500 9E000009
	ds_read_b64_tr_b16 a[160:161], v8 offset:10240             // 000000009B98: DBC62800 A0000008
	ds_read_b64_tr_b16 a[162:163], v8 offset:10496             // 000000009BA0: DBC62900 A2000008
	ds_read_b64_tr_b16 a[164:165], v9 offset:10240             // 000000009BA8: DBC62800 A4000009
	ds_read_b64_tr_b16 a[166:167], v9 offset:10496             // 000000009BB0: DBC62900 A6000009
	ds_read_b64_tr_b16 a[168:169], v8 offset:11264             // 000000009BB8: DBC62C00 A8000008
	ds_read_b64_tr_b16 a[170:171], v8 offset:11520             // 000000009BC0: DBC62D00 AA000008
	ds_read_b64_tr_b16 a[172:173], v9 offset:11264             // 000000009BC8: DBC62C00 AC000009
	ds_read_b64_tr_b16 a[174:175], v9 offset:11520             // 000000009BD0: DBC62D00 AE000009
	ds_read_b64_tr_b16 a[176:177], v8 offset:12288             // 000000009BD8: DBC63000 B0000008
	ds_read_b64_tr_b16 a[178:179], v8 offset:12544             // 000000009BE0: DBC63100 B2000008
	ds_read_b64_tr_b16 a[180:181], v9 offset:12288             // 000000009BE8: DBC63000 B4000009
	ds_read_b64_tr_b16 a[182:183], v9 offset:12544             // 000000009BF0: DBC63100 B6000009
	ds_read_b64_tr_b16 a[184:185], v8 offset:13312             // 000000009BF8: DBC63400 B8000008
	ds_read_b64_tr_b16 a[186:187], v8 offset:13568             // 000000009C00: DBC63500 BA000008
	ds_read_b64_tr_b16 a[188:189], v9 offset:13312             // 000000009C08: DBC63400 BC000009
	ds_read_b64_tr_b16 a[190:191], v9 offset:13568             // 000000009C10: DBC63500 BE000009
	ds_read_b64_tr_b16 a[192:193], v8 offset:14336             // 000000009C18: DBC63800 C0000008
	ds_read_b64_tr_b16 a[194:195], v8 offset:14592             // 000000009C20: DBC63900 C2000008
	ds_read_b64_tr_b16 a[196:197], v9 offset:14336             // 000000009C28: DBC63800 C4000009
	ds_read_b64_tr_b16 a[198:199], v9 offset:14592             // 000000009C30: DBC63900 C6000009
	ds_read_b64_tr_b16 a[200:201], v8 offset:15360             // 000000009C38: DBC63C00 C8000008
	ds_read_b64_tr_b16 a[202:203], v8 offset:15616             // 000000009C40: DBC63D00 CA000008
	ds_read_b64_tr_b16 a[204:205], v9 offset:15360             // 000000009C48: DBC63C00 CC000009
	ds_read_b64_tr_b16 a[206:207], v9 offset:15616             // 000000009C50: DBC63D00 CE000009
	s_waitcnt vmcnt(0)                                         // 000000009C58: BF8C0F70
	s_barrier                                                  // 000000009C5C: BF8A0000
	s_waitcnt lgkmcnt(0)                                       // 000000009C60: BF8CC07F
	v_mfma_f32_16x16x32_bf16 v[114:117], a[144:147], v[34:37], v[114:117]// 000000009C64: D3B50072 0DCA4590
	ds_read_b128 a[72:75], v19                                 // 000000009C6C: DBFE0000 48000013
	ds_read_b128 a[76:79], v19 offset:1024                     // 000000009C74: DBFE0400 4C000013
	v_mfma_f32_16x16x32_bf16 v[118:121], a[148:151], v[34:37], v[118:121]// 000000009C7C: D3B50076 0DDA4594
	ds_read_b128 a[80:83], v19 offset:2048                     // 000000009C84: DBFE0800 50000013
	ds_read_b128 a[84:87], v19 offset:3072                     // 000000009C8C: DBFE0C00 54000013
	v_mfma_f32_16x16x32_bf16 v[122:125], a[152:155], v[34:37], v[122:125]// 000000009C94: D3B5007A 0DEA4598
	ds_read_b128 a[88:91], v19 offset:4096                     // 000000009C9C: DBFE1000 58000013
	ds_read_b128 a[92:95], v19 offset:5120                     // 000000009CA4: DBFE1400 5C000013
	v_mfma_f32_16x16x32_bf16 v[126:129], a[156:159], v[34:37], v[126:129]// 000000009CAC: D3B5007E 0DFA459C
	ds_read_b128 a[96:99], v19 offset:6144                     // 000000009CB4: DBFE1800 60000013
	ds_read_b128 a[100:103], v19 offset:7168                   // 000000009CBC: DBFE1C00 64000013
	v_mfma_f32_16x16x32_bf16 v[130:133], a[160:163], v[34:37], v[130:133]// 000000009CC4: D3B50082 0E0A45A0
	ds_read_b128 a[104:107], v19 offset:8192                   // 000000009CCC: DBFE2000 68000013
	ds_read_b128 a[108:111], v19 offset:9216                   // 000000009CD4: DBFE2400 6C000013
	v_mfma_f32_16x16x32_bf16 v[134:137], a[164:167], v[34:37], v[134:137]// 000000009CDC: D3B50086 0E1A45A4
	ds_read_b128 a[112:115], v19 offset:10240                  // 000000009CE4: DBFE2800 70000013
	ds_read_b128 a[116:119], v19 offset:11264                  // 000000009CEC: DBFE2C00 74000013
	v_mfma_f32_16x16x32_bf16 v[138:141], a[168:171], v[34:37], v[138:141]// 000000009CF4: D3B5008A 0E2A45A8
	ds_read_b128 a[120:123], v19 offset:12288                  // 000000009CFC: DBFE3000 78000013
	ds_read_b128 a[124:127], v19 offset:13312                  // 000000009D04: DBFE3400 7C000013
	v_mfma_f32_16x16x32_bf16 v[142:145], a[172:175], v[34:37], v[142:145]// 000000009D0C: D3B5008E 0E3A45AC
	ds_read_b128 a[128:131], v19 offset:14336                  // 000000009D14: DBFE3800 80000013
	ds_read_b128 a[132:135], v19 offset:15360                  // 000000009D1C: DBFE3C00 84000013
	v_mfma_f32_16x16x32_bf16 v[146:149], a[176:179], v[34:37], v[146:149]// 000000009D24: D3B50092 0E4A45B0
	ds_read_b128 a[136:139], v19 offset:16384                  // 000000009D2C: DBFE4000 88000013
	ds_read_b128 a[140:143], v19 offset:17408                  // 000000009D34: DBFE4400 8C000013
	v_mfma_f32_16x16x32_bf16 v[150:153], a[180:183], v[34:37], v[150:153]// 000000009D3C: D3B50096 0E5A45B4
	v_mfma_f32_16x16x32_bf16 v[154:157], a[184:187], v[34:37], v[154:157]// 000000009D44: D3B5009A 0E6A45B8
	v_mfma_f32_16x16x32_bf16 v[158:161], a[188:191], v[34:37], v[158:161]// 000000009D4C: D3B5009E 0E7A45BC
	v_mfma_f32_16x16x32_bf16 v[162:165], a[192:195], v[34:37], v[162:165]// 000000009D54: D3B500A2 0E8A45C0
	v_mfma_f32_16x16x32_bf16 v[166:169], a[196:199], v[34:37], v[166:169]// 000000009D5C: D3B500A6 0E9A45C4
	v_mfma_f32_16x16x32_bf16 v[170:173], a[200:203], v[34:37], v[170:173]// 000000009D64: D3B500AA 0EAA45C8
	v_mfma_f32_16x16x32_bf16 v[174:177], a[204:207], v[34:37], v[174:177]// 000000009D6C: D3B500AE 0EBA45CC
	s_branch label_8CB8                                        // 000000009D74: BF820510

0000000000009d78 <label_7878>:
	s_sub_u32 s56, s71, 2                                      // 000000009D78: 80B88247
	s_mul_i32 s56, s84, s56                                    // 000000009D7C: 92383854
	s_add_u32 s83, s56, s83                                    // 000000009D80: 80535338
	s_cmp_le_i32 s83, s82                                      // 000000009D84: BF055253
	s_cbranch_scc1 label_7994                                  // 000000009D88: BF850042
	v_mov_b32_e32 v28, s82                                     // 000000009D8C: 7E380252
	s_cmp_eq_i32 s81, 1                                        // 000000009D90: BF008151
	s_cbranch_scc1 label_78B0                                  // 000000009D94: BF850006
	s_cmp_eq_i32 s81, 2                                        // 000000009D98: BF008251
	s_cbranch_scc1 label_78A8                                  // 000000009D9C: BF850002
	v_add_u32_e32 v28, s7, v28                                 // 000000009DA0: 68383807
	s_branch label_78B0                                        // 000000009DA4: BF820002

0000000000009da8 <label_78A8>:
	s_lshr_b32 s56, s7, 1                                      // 000000009DA8: 8F388107
	v_add_u32_e32 v28, s56, v28                                // 000000009DAC: 68383838

0000000000009db0 <label_78B0>:
	s_sub_u32 s56, s83, 31                                     // 000000009DB0: 80B89F53
	v_lshrrev_b32_e32 v18, 4, v0                               // 000000009DB4: 20240084
	v_mul_i32_i24_e32 v18, 4, v18                              // 000000009DB8: 0C242484
	v_add_u32_e32 v18, s56, v18                                // 000000009DBC: 68242438
	v_add_u32_e32 v19, 1, v18                                  // 000000009DC0: 68262481
	v_add_u32_e32 v20, 2, v18                                  // 000000009DC4: 68282482
	v_add_u32_e32 v21, 3, v18                                  // 000000009DC8: 682A2483
	v_mov_b32_e32 v29, 0xff800000                              // 000000009DCC: 7E3A02FF FF800000
	v_cmp_le_u32_e64 s[36:37], v18, v28                        // 000000009DD4: D0CB0024 00023912
	v_add_u32_e32 v18, 16, v18                                 // 000000009DDC: 68242490
	s_nop 0                                                    // 000000009DE0: BF800000
	v_cndmask_b32_e64 v42, v29, v42, s[36:37]                  // 000000009DE4: D100002A 0092551D
	v_cmp_le_u32_e64 s[36:37], v19, v28                        // 000000009DEC: D0CB0024 00023913
	v_add_u32_e32 v19, 16, v19                                 // 000000009DF4: 68262690
	s_nop 0                                                    // 000000009DF8: BF800000
	v_cndmask_b32_e64 v43, v29, v43, s[36:37]                  // 000000009DFC: D100002B 0092571D
	v_cmp_le_u32_e64 s[36:37], v20, v28                        // 000000009E04: D0CB0024 00023914
	v_add_u32_e32 v20, 16, v20                                 // 000000009E0C: 68282890
	s_nop 0                                                    // 000000009E10: BF800000
	v_cndmask_b32_e64 v44, v29, v44, s[36:37]                  // 000000009E14: D100002C 0092591D
	v_cmp_le_u32_e64 s[36:37], v21, v28                        // 000000009E1C: D0CB0024 00023915
	v_add_u32_e32 v21, 16, v21                                 // 000000009E24: 682A2A90
	s_nop 0                                                    // 000000009E28: BF800000
	v_cndmask_b32_e64 v45, v29, v45, s[36:37]                  // 000000009E2C: D100002D 00925B1D
	v_cmp_le_u32_e64 s[36:37], v18, v28                        // 000000009E34: D0CB0024 00023912
	v_add_u32_e32 v18, 16, v18                                 // 000000009E3C: 68242490
	s_nop 0                                                    // 000000009E40: BF800000
	v_cndmask_b32_e64 v46, v29, v46, s[36:37]                  // 000000009E44: D100002E 00925D1D
	v_cmp_le_u32_e64 s[36:37], v19, v28                        // 000000009E4C: D0CB0024 00023913
	v_add_u32_e32 v19, 16, v19                                 // 000000009E54: 68262690
	s_nop 0                                                    // 000000009E58: BF800000
	v_cndmask_b32_e64 v47, v29, v47, s[36:37]                  // 000000009E5C: D100002F 00925F1D
	v_cmp_le_u32_e64 s[36:37], v20, v28                        // 000000009E64: D0CB0024 00023914
	v_add_u32_e32 v20, 16, v20                                 // 000000009E6C: 68282890
	s_nop 0                                                    // 000000009E70: BF800000
	v_cndmask_b32_e64 v48, v29, v48, s[36:37]                  // 000000009E74: D1000030 0092611D
	v_cmp_le_u32_e64 s[36:37], v21, v28                        // 000000009E7C: D0CB0024 00023915
	v_add_u32_e32 v21, 16, v21                                 // 000000009E84: 682A2A90
	s_nop 0                                                    // 000000009E88: BF800000
	v_cndmask_b32_e64 v49, v29, v49, s[36:37]                  // 000000009E8C: D1000031 0092631D

0000000000009e94 <label_7994>:
	s_add_u32 s83, s84, s83                                    // 000000009E94: 80535354
	s_nop 2                                                    // 000000009E98: BF800002
	v_mov_b32_e32 v29, v42                                     // 000000009E9C: 7E3A032A
	v_max3_f32 v29, v42, v43, v29                              // 000000009EA0: D1D3001D 0476572A
	v_max3_f32 v29, v44, v45, v29                              // 000000009EA8: D1D3001D 04765B2C
	v_max3_f32 v29, v46, v47, v29                              // 000000009EB0: D1D3001D 04765F2E
	v_max3_f32 v29, v48, v49, v29                              // 000000009EB8: D1D3001D 04766330
	v_mov_b32_e32 v28, v29                                     // 000000009EC0: 7E38031D
	v_mov_b32_e32 v29, v29                                     // 000000009EC4: 7E3A031D
	s_nop 1                                                    // 000000009EC8: BF800001
	v_permlane16_swap_b32_e32 v28, v29                         // 000000009ECC: 7E38B31D
	v_mov_b32_e32 v31, v28                                     // 000000009ED0: 7E3E031C
	v_mov_b32_e32 v30, v29                                     // 000000009ED4: 7E3C031D
	s_nop 1                                                    // 000000009ED8: BF800001
	v_permlane32_swap_b32_e32 v28, v29                         // 000000009EDC: 7E38B51D
	v_permlane32_swap_b32_e32 v30, v31                         // 000000009EE0: 7E3CB51F
	v_max3_f32 v29, v28, v29, v29                              // 000000009EE4: D1D3001D 04763B1C
	v_max3_f32 v29, v30, v31, v29                              // 000000009EEC: D1D3001D 04763F1E
	v_mov_b32_e32 v28, 0xff800000                              // 000000009EF4: 7E3802FF FF800000
	v_cmp_eq_u32_e64 s[36:37], v28, v2                         // 000000009EFC: D0CA0024 0002051C
	v_max_f32_e32 v29, v29, v2                                 // 000000009F04: 163A051D
	v_sub_f32_e32 v16, v2, v29                                 // 000000009F08: 04203B02
	v_cndmask_b32_e64 v16, v16, 0, s[36:37]                    // 000000009F0C: D1000010 00910110
	v_mov_b32_e32 v2, v29                                      // 000000009F14: 7E04031D
	v_mul_f32_e32 v29, s5, v29                                 // 000000009F18: 0A3A3A05
	v_mul_f32_e32 v16, s5, v16                                 // 000000009F1C: 0A202005
	v_exp_f32_e32 v16, v16                                     // 000000009F20: 7E204110
	v_fma_f32 v42, v42, s5, -v29                               // 000000009F24: D1CB002A 84740B2A
	v_fma_f32 v43, v43, s5, -v29                               // 000000009F2C: D1CB002B 84740B2B
	v_fma_f32 v44, v44, s5, -v29                               // 000000009F34: D1CB002C 84740B2C
	v_fma_f32 v45, v45, s5, -v29                               // 000000009F3C: D1CB002D 84740B2D
	v_fma_f32 v46, v46, s5, -v29                               // 000000009F44: D1CB002E 84740B2E
	v_fma_f32 v47, v47, s5, -v29                               // 000000009F4C: D1CB002F 84740B2F
	v_fma_f32 v48, v48, s5, -v29                               // 000000009F54: D1CB0030 84740B30
	v_fma_f32 v49, v49, s5, -v29                               // 000000009F5C: D1CB0031 84740B31
	v_exp_f32_e32 v42, v42                                     // 000000009F64: 7E54412A
	v_exp_f32_e32 v43, v43                                     // 000000009F68: 7E56412B
	v_exp_f32_e32 v44, v44                                     // 000000009F6C: 7E58412C
	v_exp_f32_e32 v45, v45                                     // 000000009F70: 7E5A412D
	v_exp_f32_e32 v46, v46                                     // 000000009F74: 7E5C412E
	v_exp_f32_e32 v47, v47                                     // 000000009F78: 7E5E412F
	v_exp_f32_e32 v48, v48                                     // 000000009F7C: 7E604130
	v_exp_f32_e32 v49, v49                                     // 000000009F80: 7E624131
	v_mul_f32_e32 v4, v16, v4                                  // 000000009F84: 0A080910
	v_mov_b32_e32 v28, v42                                     // 000000009F88: 7E38032A
	v_add_f32_e32 v28, v43, v28                                // 000000009F8C: 0238392B
	v_add_f32_e32 v28, v44, v28                                // 000000009F90: 0238392C
	v_add_f32_e32 v28, v45, v28                                // 000000009F94: 0238392D
	v_add_f32_e32 v28, v46, v28                                // 000000009F98: 0238392E
	v_add_f32_e32 v28, v47, v28                                // 000000009F9C: 0238392F
	v_add_f32_e32 v28, v48, v28                                // 000000009FA0: 02383930
	v_add_f32_e32 v28, v49, v28                                // 000000009FA4: 02383931
	v_add_f32_e32 v4, v28, v4                                  // 000000009FA8: 0208091C
	v_cvt_pk_bf16_f32 v42, v42, v43                            // 000000009FAC: D268002A 0002572A
	v_cvt_pk_bf16_f32 v43, v44, v45                            // 000000009FB4: D268002B 00025B2C
	v_cvt_pk_bf16_f32 v44, v46, v47                            // 000000009FBC: D268002C 00025F2E
	v_cvt_pk_bf16_f32 v45, v48, v49                            // 000000009FC4: D268002D 00026330
	s_nop 0                                                    // 000000009FCC: BF800000
	v_permlane32_swap_b32_e32 v42, v44                         // 000000009FD0: 7E54B52C
	v_permlane32_swap_b32_e32 v43, v45                         // 000000009FD4: 7E56B52D
	s_nop 0                                                    // 000000009FD8: BF800000
	v_permlane16_swap_b32_e32 v42, v44                         // 000000009FDC: 7E54B32C
	v_permlane16_swap_b32_e32 v43, v45                         // 000000009FE0: 7E56B32D
	s_waitcnt lgkmcnt(4)                                       // 000000009FE4: BF8CC47F
	v_mfma_f32_16x16x32_bf16 v[50:53], a[144:147], v[34:37], v[50:53]// 000000009FE8: D3B50032 0CCA4590
	v_mfma_f32_16x16x32_bf16 v[54:57], a[148:151], v[34:37], v[54:57]// 000000009FF0: D3B50036 0CDA4594
	v_mfma_f32_16x16x32_bf16 v[58:61], a[152:155], v[34:37], v[58:61]// 000000009FF8: D3B5003A 0CEA4598
	v_mfma_f32_16x16x32_bf16 v[62:65], a[156:159], v[34:37], v[62:65]// 00000000A000: D3B5003E 0CFA459C
	v_mfma_f32_16x16x32_bf16 v[66:69], a[160:163], v[34:37], v[66:69]// 00000000A008: D3B50042 0D0A45A0
	v_mfma_f32_16x16x32_bf16 v[70:73], a[164:167], v[34:37], v[70:73]// 00000000A010: D3B50046 0D1A45A4
	v_mfma_f32_16x16x32_bf16 v[74:77], a[168:171], v[34:37], v[74:77]// 00000000A018: D3B5004A 0D2A45A8
	v_mfma_f32_16x16x32_bf16 v[78:81], a[172:175], v[34:37], v[78:81]// 00000000A020: D3B5004E 0D3A45AC
	v_mfma_f32_16x16x32_bf16 v[82:85], a[176:179], v[34:37], v[82:85]// 00000000A028: D3B50052 0D4A45B0
	v_mfma_f32_16x16x32_bf16 v[86:89], a[180:183], v[34:37], v[86:89]// 00000000A030: D3B50056 0D5A45B4
	v_mfma_f32_16x16x32_bf16 v[90:93], a[184:187], v[34:37], v[90:93]// 00000000A038: D3B5005A 0D6A45B8
	v_mfma_f32_16x16x32_bf16 v[94:97], a[188:191], v[34:37], v[94:97]// 00000000A040: D3B5005E 0D7A45BC
	v_mfma_f32_16x16x32_bf16 v[98:101], a[192:195], v[34:37], v[98:101]// 00000000A048: D3B50062 0D8A45C0
	v_mfma_f32_16x16x32_bf16 v[102:105], a[196:199], v[34:37], v[102:105]// 00000000A050: D3B50066 0D9A45C4
	v_mfma_f32_16x16x32_bf16 v[106:109], a[200:203], v[34:37], v[106:109]// 00000000A058: D3B5006A 0DAA45C8
	v_mfma_f32_16x16x32_bf16 v[110:113], a[204:207], v[34:37], v[110:113]// 00000000A060: D3B5006E 0DBA45CC
	ds_read_b64_tr_b16 a[144:145], v8 offset:8192              // 00000000A068: DBC62000 90000008
	ds_read_b64_tr_b16 a[146:147], v8 offset:8448              // 00000000A070: DBC62100 92000008
	ds_read_b64_tr_b16 a[148:149], v9 offset:8192              // 00000000A078: DBC62000 94000009
	ds_read_b64_tr_b16 a[150:151], v9 offset:8448              // 00000000A080: DBC62100 96000009
	ds_read_b64_tr_b16 a[152:153], v8 offset:9216              // 00000000A088: DBC62400 98000008
	ds_read_b64_tr_b16 a[154:155], v8 offset:9472              // 00000000A090: DBC62500 9A000008
	ds_read_b64_tr_b16 a[156:157], v9 offset:9216              // 00000000A098: DBC62400 9C000009
	ds_read_b64_tr_b16 a[158:159], v9 offset:9472              // 00000000A0A0: DBC62500 9E000009
	ds_read_b64_tr_b16 a[160:161], v8 offset:10240             // 00000000A0A8: DBC62800 A0000008
	ds_read_b64_tr_b16 a[162:163], v8 offset:10496             // 00000000A0B0: DBC62900 A2000008
	ds_read_b64_tr_b16 a[164:165], v9 offset:10240             // 00000000A0B8: DBC62800 A4000009
	ds_read_b64_tr_b16 a[166:167], v9 offset:10496             // 00000000A0C0: DBC62900 A6000009
	ds_read_b64_tr_b16 a[168:169], v8 offset:11264             // 00000000A0C8: DBC62C00 A8000008
	ds_read_b64_tr_b16 a[170:171], v8 offset:11520             // 00000000A0D0: DBC62D00 AA000008
	ds_read_b64_tr_b16 a[172:173], v9 offset:11264             // 00000000A0D8: DBC62C00 AC000009
	ds_read_b64_tr_b16 a[174:175], v9 offset:11520             // 00000000A0E0: DBC62D00 AE000009
	ds_read_b64_tr_b16 a[176:177], v8 offset:12288             // 00000000A0E8: DBC63000 B0000008
	ds_read_b64_tr_b16 a[178:179], v8 offset:12544             // 00000000A0F0: DBC63100 B2000008
	ds_read_b64_tr_b16 a[180:181], v9 offset:12288             // 00000000A0F8: DBC63000 B4000009
	ds_read_b64_tr_b16 a[182:183], v9 offset:12544             // 00000000A100: DBC63100 B6000009
	ds_read_b64_tr_b16 a[184:185], v8 offset:13312             // 00000000A108: DBC63400 B8000008
	ds_read_b64_tr_b16 a[186:187], v8 offset:13568             // 00000000A110: DBC63500 BA000008
	ds_read_b64_tr_b16 a[188:189], v9 offset:13312             // 00000000A118: DBC63400 BC000009
	ds_read_b64_tr_b16 a[190:191], v9 offset:13568             // 00000000A120: DBC63500 BE000009
	ds_read_b64_tr_b16 a[192:193], v8 offset:14336             // 00000000A128: DBC63800 C0000008
	ds_read_b64_tr_b16 a[194:195], v8 offset:14592             // 00000000A130: DBC63900 C2000008
	ds_read_b64_tr_b16 a[196:197], v9 offset:14336             // 00000000A138: DBC63800 C4000009
	ds_read_b64_tr_b16 a[198:199], v9 offset:14592             // 00000000A140: DBC63900 C6000009
	ds_read_b64_tr_b16 a[200:201], v8 offset:15360             // 00000000A148: DBC63C00 C8000008
	ds_read_b64_tr_b16 a[202:203], v8 offset:15616             // 00000000A150: DBC63D00 CA000008
	ds_read_b64_tr_b16 a[204:205], v9 offset:15360             // 00000000A158: DBC63C00 CC000009
	ds_read_b64_tr_b16 a[206:207], v9 offset:15616             // 00000000A160: DBC63D00 CE000009
	s_waitcnt lgkmcnt(0)                                       // 00000000A168: BF8CC07F
	v_mfma_f32_16x16x32_bf16 v[114:117], a[144:147], v[34:37], v[114:117]// 00000000A16C: D3B50072 0DCA4590
	v_mfma_f32_16x16x32_bf16 v[118:121], a[148:151], v[34:37], v[118:121]// 00000000A174: D3B50076 0DDA4594
	v_mfma_f32_16x16x32_bf16 v[122:125], a[152:155], v[34:37], v[122:125]// 00000000A17C: D3B5007A 0DEA4598
	v_mfma_f32_16x16x32_bf16 v[126:129], a[156:159], v[34:37], v[126:129]// 00000000A184: D3B5007E 0DFA459C
	v_mfma_f32_16x16x32_bf16 v[130:133], a[160:163], v[34:37], v[130:133]// 00000000A18C: D3B50082 0E0A45A0
	v_mfma_f32_16x16x32_bf16 v[134:137], a[164:167], v[34:37], v[134:137]// 00000000A194: D3B50086 0E1A45A4
	v_mfma_f32_16x16x32_bf16 v[138:141], a[168:171], v[34:37], v[138:141]// 00000000A19C: D3B5008A 0E2A45A8
	v_mfma_f32_16x16x32_bf16 v[142:145], a[172:175], v[34:37], v[142:145]// 00000000A1A4: D3B5008E 0E3A45AC
	v_mfma_f32_16x16x32_bf16 v[146:149], a[176:179], v[34:37], v[146:149]// 00000000A1AC: D3B50092 0E4A45B0
	v_mfma_f32_16x16x32_bf16 v[150:153], a[180:183], v[34:37], v[150:153]// 00000000A1B4: D3B50096 0E5A45B4
	v_mfma_f32_16x16x32_bf16 v[154:157], a[184:187], v[34:37], v[154:157]// 00000000A1BC: D3B5009A 0E6A45B8
	v_mfma_f32_16x16x32_bf16 v[158:161], a[188:191], v[34:37], v[158:161]// 00000000A1C4: D3B5009E 0E7A45BC
	v_mfma_f32_16x16x32_bf16 v[162:165], a[192:195], v[34:37], v[162:165]// 00000000A1CC: D3B500A2 0E8A45C0
	v_mfma_f32_16x16x32_bf16 v[166:169], a[196:199], v[34:37], v[166:169]// 00000000A1D4: D3B500A6 0E9A45C4
	v_mfma_f32_16x16x32_bf16 v[170:173], a[200:203], v[34:37], v[170:173]// 00000000A1DC: D3B500AA 0EAA45C8
	v_mfma_f32_16x16x32_bf16 v[174:177], a[204:207], v[34:37], v[174:177]// 00000000A1E4: D3B500AE 0EBA45CC
	ds_read_b64_tr_b16 a[144:145], v10                         // 00000000A1EC: DBC60000 9000000A
	ds_read_b64_tr_b16 a[146:147], v10 offset:256              // 00000000A1F4: DBC60100 9200000A
	ds_read_b64_tr_b16 a[148:149], v11                         // 00000000A1FC: DBC60000 9400000B
	ds_read_b64_tr_b16 a[150:151], v11 offset:256              // 00000000A204: DBC60100 9600000B
	ds_read_b64_tr_b16 a[152:153], v10 offset:1024             // 00000000A20C: DBC60400 9800000A
	ds_read_b64_tr_b16 a[154:155], v10 offset:1280             // 00000000A214: DBC60500 9A00000A
	ds_read_b64_tr_b16 a[156:157], v11 offset:1024             // 00000000A21C: DBC60400 9C00000B
	ds_read_b64_tr_b16 a[158:159], v11 offset:1280             // 00000000A224: DBC60500 9E00000B
	ds_read_b64_tr_b16 a[160:161], v10 offset:2048             // 00000000A22C: DBC60800 A000000A
	ds_read_b64_tr_b16 a[162:163], v10 offset:2304             // 00000000A234: DBC60900 A200000A
	ds_read_b64_tr_b16 a[164:165], v11 offset:2048             // 00000000A23C: DBC60800 A400000B
	ds_read_b64_tr_b16 a[166:167], v11 offset:2304             // 00000000A244: DBC60900 A600000B
	ds_read_b64_tr_b16 a[168:169], v10 offset:3072             // 00000000A24C: DBC60C00 A800000A
	ds_read_b64_tr_b16 a[170:171], v10 offset:3328             // 00000000A254: DBC60D00 AA00000A
	ds_read_b64_tr_b16 a[172:173], v11 offset:3072             // 00000000A25C: DBC60C00 AC00000B
	ds_read_b64_tr_b16 a[174:175], v11 offset:3328             // 00000000A264: DBC60D00 AE00000B
	ds_read_b64_tr_b16 a[176:177], v10 offset:4096             // 00000000A26C: DBC61000 B000000A
	ds_read_b64_tr_b16 a[178:179], v10 offset:4352             // 00000000A274: DBC61100 B200000A
	ds_read_b64_tr_b16 a[180:181], v11 offset:4096             // 00000000A27C: DBC61000 B400000B
	ds_read_b64_tr_b16 a[182:183], v11 offset:4352             // 00000000A284: DBC61100 B600000B
	ds_read_b64_tr_b16 a[184:185], v10 offset:5120             // 00000000A28C: DBC61400 B800000A
	ds_read_b64_tr_b16 a[186:187], v10 offset:5376             // 00000000A294: DBC61500 BA00000A
	ds_read_b64_tr_b16 a[188:189], v11 offset:5120             // 00000000A29C: DBC61400 BC00000B
	ds_read_b64_tr_b16 a[190:191], v11 offset:5376             // 00000000A2A4: DBC61500 BE00000B
	ds_read_b64_tr_b16 a[192:193], v10 offset:6144             // 00000000A2AC: DBC61800 C000000A
	ds_read_b64_tr_b16 a[194:195], v10 offset:6400             // 00000000A2B4: DBC61900 C200000A
	ds_read_b64_tr_b16 a[196:197], v11 offset:6144             // 00000000A2BC: DBC61800 C400000B
	ds_read_b64_tr_b16 a[198:199], v11 offset:6400             // 00000000A2C4: DBC61900 C600000B
	ds_read_b64_tr_b16 a[200:201], v10 offset:7168             // 00000000A2CC: DBC61C00 C800000A
	ds_read_b64_tr_b16 a[202:203], v10 offset:7424             // 00000000A2D4: DBC61D00 CA00000A
	ds_read_b64_tr_b16 a[204:205], v11 offset:7168             // 00000000A2DC: DBC61C00 CC00000B
	ds_read_b64_tr_b16 a[206:207], v11 offset:7424             // 00000000A2E4: DBC61D00 CE00000B
	v_mov_b32_e32 v30, v16                                     // 00000000A2EC: 7E3C0310
	v_mov_b32_e32 v31, v16                                     // 00000000A2F0: 7E3E0310
	v_pk_mul_f32 v[50:51], v[30:31], v[50:51]                  // 00000000A2F4: D3B14032 1802651E
	v_pk_mul_f32 v[52:53], v[30:31], v[52:53]                  // 00000000A2FC: D3B14034 1802691E
	v_pk_mul_f32 v[54:55], v[30:31], v[54:55]                  // 00000000A304: D3B14036 18026D1E
	v_pk_mul_f32 v[56:57], v[30:31], v[56:57]                  // 00000000A30C: D3B14038 1802711E
	v_pk_mul_f32 v[58:59], v[30:31], v[58:59]                  // 00000000A314: D3B1403A 1802751E
	v_pk_mul_f32 v[60:61], v[30:31], v[60:61]                  // 00000000A31C: D3B1403C 1802791E
	v_pk_mul_f32 v[62:63], v[30:31], v[62:63]                  // 00000000A324: D3B1403E 18027D1E
	v_pk_mul_f32 v[64:65], v[30:31], v[64:65]                  // 00000000A32C: D3B14040 1802811E
	v_pk_mul_f32 v[66:67], v[30:31], v[66:67]                  // 00000000A334: D3B14042 1802851E
	v_pk_mul_f32 v[68:69], v[30:31], v[68:69]                  // 00000000A33C: D3B14044 1802891E
	v_pk_mul_f32 v[70:71], v[30:31], v[70:71]                  // 00000000A344: D3B14046 18028D1E
	v_pk_mul_f32 v[72:73], v[30:31], v[72:73]                  // 00000000A34C: D3B14048 1802911E
	v_pk_mul_f32 v[74:75], v[30:31], v[74:75]                  // 00000000A354: D3B1404A 1802951E
	v_pk_mul_f32 v[76:77], v[30:31], v[76:77]                  // 00000000A35C: D3B1404C 1802991E
	v_pk_mul_f32 v[78:79], v[30:31], v[78:79]                  // 00000000A364: D3B1404E 18029D1E
	v_pk_mul_f32 v[80:81], v[30:31], v[80:81]                  // 00000000A36C: D3B14050 1802A11E
	v_pk_mul_f32 v[82:83], v[30:31], v[82:83]                  // 00000000A374: D3B14052 1802A51E
	v_pk_mul_f32 v[84:85], v[30:31], v[84:85]                  // 00000000A37C: D3B14054 1802A91E
	v_pk_mul_f32 v[86:87], v[30:31], v[86:87]                  // 00000000A384: D3B14056 1802AD1E
	v_pk_mul_f32 v[88:89], v[30:31], v[88:89]                  // 00000000A38C: D3B14058 1802B11E
	v_pk_mul_f32 v[90:91], v[30:31], v[90:91]                  // 00000000A394: D3B1405A 1802B51E
	v_pk_mul_f32 v[92:93], v[30:31], v[92:93]                  // 00000000A39C: D3B1405C 1802B91E
	v_pk_mul_f32 v[94:95], v[30:31], v[94:95]                  // 00000000A3A4: D3B1405E 1802BD1E
	v_pk_mul_f32 v[96:97], v[30:31], v[96:97]                  // 00000000A3AC: D3B14060 1802C11E
	v_pk_mul_f32 v[98:99], v[30:31], v[98:99]                  // 00000000A3B4: D3B14062 1802C51E
	v_pk_mul_f32 v[100:101], v[30:31], v[100:101]              // 00000000A3BC: D3B14064 1802C91E
	v_pk_mul_f32 v[102:103], v[30:31], v[102:103]              // 00000000A3C4: D3B14066 1802CD1E
	v_pk_mul_f32 v[104:105], v[30:31], v[104:105]              // 00000000A3CC: D3B14068 1802D11E
	v_pk_mul_f32 v[106:107], v[30:31], v[106:107]              // 00000000A3D4: D3B1406A 1802D51E
	v_pk_mul_f32 v[108:109], v[30:31], v[108:109]              // 00000000A3DC: D3B1406C 1802D91E
	v_pk_mul_f32 v[110:111], v[30:31], v[110:111]              // 00000000A3E4: D3B1406E 1802DD1E
	v_pk_mul_f32 v[112:113], v[30:31], v[112:113]              // 00000000A3EC: D3B14070 1802E11E
	v_pk_mul_f32 v[114:115], v[30:31], v[114:115]              // 00000000A3F4: D3B14072 1802E51E
	v_pk_mul_f32 v[116:117], v[30:31], v[116:117]              // 00000000A3FC: D3B14074 1802E91E
	v_pk_mul_f32 v[118:119], v[30:31], v[118:119]              // 00000000A404: D3B14076 1802ED1E
	v_pk_mul_f32 v[120:121], v[30:31], v[120:121]              // 00000000A40C: D3B14078 1802F11E
	v_pk_mul_f32 v[122:123], v[30:31], v[122:123]              // 00000000A414: D3B1407A 1802F51E
	v_pk_mul_f32 v[124:125], v[30:31], v[124:125]              // 00000000A41C: D3B1407C 1802F91E
	v_pk_mul_f32 v[126:127], v[30:31], v[126:127]              // 00000000A424: D3B1407E 1802FD1E
	v_pk_mul_f32 v[128:129], v[30:31], v[128:129]              // 00000000A42C: D3B14080 1803011E
	v_pk_mul_f32 v[130:131], v[30:31], v[130:131]              // 00000000A434: D3B14082 1803051E
	v_pk_mul_f32 v[132:133], v[30:31], v[132:133]              // 00000000A43C: D3B14084 1803091E
	v_pk_mul_f32 v[134:135], v[30:31], v[134:135]              // 00000000A444: D3B14086 18030D1E
	v_pk_mul_f32 v[136:137], v[30:31], v[136:137]              // 00000000A44C: D3B14088 1803111E
	v_pk_mul_f32 v[138:139], v[30:31], v[138:139]              // 00000000A454: D3B1408A 1803151E
	v_pk_mul_f32 v[140:141], v[30:31], v[140:141]              // 00000000A45C: D3B1408C 1803191E
	v_pk_mul_f32 v[142:143], v[30:31], v[142:143]              // 00000000A464: D3B1408E 18031D1E
	v_pk_mul_f32 v[144:145], v[30:31], v[144:145]              // 00000000A46C: D3B14090 1803211E
	v_pk_mul_f32 v[146:147], v[30:31], v[146:147]              // 00000000A474: D3B14092 1803251E
	v_pk_mul_f32 v[148:149], v[30:31], v[148:149]              // 00000000A47C: D3B14094 1803291E
	v_pk_mul_f32 v[150:151], v[30:31], v[150:151]              // 00000000A484: D3B14096 18032D1E
	v_pk_mul_f32 v[152:153], v[30:31], v[152:153]              // 00000000A48C: D3B14098 1803311E
	v_pk_mul_f32 v[154:155], v[30:31], v[154:155]              // 00000000A494: D3B1409A 1803351E
	v_pk_mul_f32 v[156:157], v[30:31], v[156:157]              // 00000000A49C: D3B1409C 1803391E
	v_pk_mul_f32 v[158:159], v[30:31], v[158:159]              // 00000000A4A4: D3B1409E 18033D1E
	v_pk_mul_f32 v[160:161], v[30:31], v[160:161]              // 00000000A4AC: D3B140A0 1803411E
	v_pk_mul_f32 v[162:163], v[30:31], v[162:163]              // 00000000A4B4: D3B140A2 1803451E
	v_pk_mul_f32 v[164:165], v[30:31], v[164:165]              // 00000000A4BC: D3B140A4 1803491E
	v_pk_mul_f32 v[166:167], v[30:31], v[166:167]              // 00000000A4C4: D3B140A6 18034D1E
	v_pk_mul_f32 v[168:169], v[30:31], v[168:169]              // 00000000A4CC: D3B140A8 1803511E
	v_pk_mul_f32 v[170:171], v[30:31], v[170:171]              // 00000000A4D4: D3B140AA 1803551E
	v_pk_mul_f32 v[172:173], v[30:31], v[172:173]              // 00000000A4DC: D3B140AC 1803591E
	v_pk_mul_f32 v[174:175], v[30:31], v[174:175]              // 00000000A4E4: D3B140AE 18035D1E
	v_pk_mul_f32 v[176:177], v[30:31], v[176:177]              // 00000000A4EC: D3B140B0 1803611E
	s_waitcnt lgkmcnt(4)                                       // 00000000A4F4: BF8CC47F
	v_mfma_f32_16x16x32_bf16 v[50:53], a[144:147], v[42:45], v[50:53]// 00000000A4F8: D3B50032 0CCA5590
	v_mfma_f32_16x16x32_bf16 v[54:57], a[148:151], v[42:45], v[54:57]// 00000000A500: D3B50036 0CDA5594
	v_mfma_f32_16x16x32_bf16 v[58:61], a[152:155], v[42:45], v[58:61]// 00000000A508: D3B5003A 0CEA5598
	v_mfma_f32_16x16x32_bf16 v[62:65], a[156:159], v[42:45], v[62:65]// 00000000A510: D3B5003E 0CFA559C
	v_mfma_f32_16x16x32_bf16 v[66:69], a[160:163], v[42:45], v[66:69]// 00000000A518: D3B50042 0D0A55A0
	v_mfma_f32_16x16x32_bf16 v[70:73], a[164:167], v[42:45], v[70:73]// 00000000A520: D3B50046 0D1A55A4
	v_mfma_f32_16x16x32_bf16 v[74:77], a[168:171], v[42:45], v[74:77]// 00000000A528: D3B5004A 0D2A55A8
	v_mfma_f32_16x16x32_bf16 v[78:81], a[172:175], v[42:45], v[78:81]// 00000000A530: D3B5004E 0D3A55AC
	v_mfma_f32_16x16x32_bf16 v[82:85], a[176:179], v[42:45], v[82:85]// 00000000A538: D3B50052 0D4A55B0
	v_mfma_f32_16x16x32_bf16 v[86:89], a[180:183], v[42:45], v[86:89]// 00000000A540: D3B50056 0D5A55B4
	v_mfma_f32_16x16x32_bf16 v[90:93], a[184:187], v[42:45], v[90:93]// 00000000A548: D3B5005A 0D6A55B8
	v_mfma_f32_16x16x32_bf16 v[94:97], a[188:191], v[42:45], v[94:97]// 00000000A550: D3B5005E 0D7A55BC
	v_mfma_f32_16x16x32_bf16 v[98:101], a[192:195], v[42:45], v[98:101]// 00000000A558: D3B50062 0D8A55C0
	v_mfma_f32_16x16x32_bf16 v[102:105], a[196:199], v[42:45], v[102:105]// 00000000A560: D3B50066 0D9A55C4
	v_mfma_f32_16x16x32_bf16 v[106:109], a[200:203], v[42:45], v[106:109]// 00000000A568: D3B5006A 0DAA55C8
	v_mfma_f32_16x16x32_bf16 v[110:113], a[204:207], v[42:45], v[110:113]// 00000000A570: D3B5006E 0DBA55CC
	ds_read_b64_tr_b16 a[144:145], v10 offset:8192             // 00000000A578: DBC62000 9000000A
	ds_read_b64_tr_b16 a[146:147], v10 offset:8448             // 00000000A580: DBC62100 9200000A
	ds_read_b64_tr_b16 a[148:149], v11 offset:8192             // 00000000A588: DBC62000 9400000B
	ds_read_b64_tr_b16 a[150:151], v11 offset:8448             // 00000000A590: DBC62100 9600000B
	ds_read_b64_tr_b16 a[152:153], v10 offset:9216             // 00000000A598: DBC62400 9800000A
	ds_read_b64_tr_b16 a[154:155], v10 offset:9472             // 00000000A5A0: DBC62500 9A00000A
	ds_read_b64_tr_b16 a[156:157], v11 offset:9216             // 00000000A5A8: DBC62400 9C00000B
	ds_read_b64_tr_b16 a[158:159], v11 offset:9472             // 00000000A5B0: DBC62500 9E00000B
	ds_read_b64_tr_b16 a[160:161], v10 offset:10240            // 00000000A5B8: DBC62800 A000000A
	ds_read_b64_tr_b16 a[162:163], v10 offset:10496            // 00000000A5C0: DBC62900 A200000A
	ds_read_b64_tr_b16 a[164:165], v11 offset:10240            // 00000000A5C8: DBC62800 A400000B
	ds_read_b64_tr_b16 a[166:167], v11 offset:10496            // 00000000A5D0: DBC62900 A600000B
	ds_read_b64_tr_b16 a[168:169], v10 offset:11264            // 00000000A5D8: DBC62C00 A800000A
	ds_read_b64_tr_b16 a[170:171], v10 offset:11520            // 00000000A5E0: DBC62D00 AA00000A
	ds_read_b64_tr_b16 a[172:173], v11 offset:11264            // 00000000A5E8: DBC62C00 AC00000B
	ds_read_b64_tr_b16 a[174:175], v11 offset:11520            // 00000000A5F0: DBC62D00 AE00000B
	ds_read_b64_tr_b16 a[176:177], v10 offset:12288            // 00000000A5F8: DBC63000 B000000A
	ds_read_b64_tr_b16 a[178:179], v10 offset:12544            // 00000000A600: DBC63100 B200000A
	ds_read_b64_tr_b16 a[180:181], v11 offset:12288            // 00000000A608: DBC63000 B400000B
	ds_read_b64_tr_b16 a[182:183], v11 offset:12544            // 00000000A610: DBC63100 B600000B
	ds_read_b64_tr_b16 a[184:185], v10 offset:13312            // 00000000A618: DBC63400 B800000A
	ds_read_b64_tr_b16 a[186:187], v10 offset:13568            // 00000000A620: DBC63500 BA00000A
	ds_read_b64_tr_b16 a[188:189], v11 offset:13312            // 00000000A628: DBC63400 BC00000B
	ds_read_b64_tr_b16 a[190:191], v11 offset:13568            // 00000000A630: DBC63500 BE00000B
	ds_read_b64_tr_b16 a[192:193], v10 offset:14336            // 00000000A638: DBC63800 C000000A
	ds_read_b64_tr_b16 a[194:195], v10 offset:14592            // 00000000A640: DBC63900 C200000A
	ds_read_b64_tr_b16 a[196:197], v11 offset:14336            // 00000000A648: DBC63800 C400000B
	ds_read_b64_tr_b16 a[198:199], v11 offset:14592            // 00000000A650: DBC63900 C600000B
	ds_read_b64_tr_b16 a[200:201], v10 offset:15360            // 00000000A658: DBC63C00 C800000A
	ds_read_b64_tr_b16 a[202:203], v10 offset:15616            // 00000000A660: DBC63D00 CA00000A
	ds_read_b64_tr_b16 a[204:205], v11 offset:15360            // 00000000A668: DBC63C00 CC00000B
	ds_read_b64_tr_b16 a[206:207], v11 offset:15616            // 00000000A670: DBC63D00 CE00000B
	s_waitcnt vmcnt(0)                                         // 00000000A678: BF8C0F70
	s_barrier                                                  // 00000000A67C: BF8A0000
	s_waitcnt lgkmcnt(0)                                       // 00000000A680: BF8CC07F
	v_mfma_f32_16x16x32_bf16 v[114:117], a[144:147], v[42:45], v[114:117]// 00000000A684: D3B50072 0DCA5590
	ds_read_b128 a[72:75], v20                                 // 00000000A68C: DBFE0000 48000014
	ds_read_b128 a[76:79], v20 offset:1024                     // 00000000A694: DBFE0400 4C000014
	v_mfma_f32_16x16x32_bf16 v[118:121], a[148:151], v[42:45], v[118:121]// 00000000A69C: D3B50076 0DDA5594
	ds_read_b128 a[80:83], v20 offset:2048                     // 00000000A6A4: DBFE0800 50000014
	ds_read_b128 a[84:87], v20 offset:3072                     // 00000000A6AC: DBFE0C00 54000014
	v_mfma_f32_16x16x32_bf16 v[122:125], a[152:155], v[42:45], v[122:125]// 00000000A6B4: D3B5007A 0DEA5598
	ds_read_b128 a[88:91], v20 offset:4096                     // 00000000A6BC: DBFE1000 58000014
	ds_read_b128 a[92:95], v20 offset:5120                     // 00000000A6C4: DBFE1400 5C000014
	v_mfma_f32_16x16x32_bf16 v[126:129], a[156:159], v[42:45], v[126:129]// 00000000A6CC: D3B5007E 0DFA559C
	ds_read_b128 a[96:99], v20 offset:6144                     // 00000000A6D4: DBFE1800 60000014
	ds_read_b128 a[100:103], v20 offset:7168                   // 00000000A6DC: DBFE1C00 64000014
	v_mfma_f32_16x16x32_bf16 v[130:133], a[160:163], v[42:45], v[130:133]// 00000000A6E4: D3B50082 0E0A55A0
	ds_read_b128 a[104:107], v20 offset:8192                   // 00000000A6EC: DBFE2000 68000014
	ds_read_b128 a[108:111], v20 offset:9216                   // 00000000A6F4: DBFE2400 6C000014
	v_mfma_f32_16x16x32_bf16 v[134:137], a[164:167], v[42:45], v[134:137]// 00000000A6FC: D3B50086 0E1A55A4
	ds_read_b128 a[112:115], v20 offset:10240                  // 00000000A704: DBFE2800 70000014
	ds_read_b128 a[116:119], v20 offset:11264                  // 00000000A70C: DBFE2C00 74000014
	v_mfma_f32_16x16x32_bf16 v[138:141], a[168:171], v[42:45], v[138:141]// 00000000A714: D3B5008A 0E2A55A8
	ds_read_b128 a[120:123], v20 offset:12288                  // 00000000A71C: DBFE3000 78000014
	ds_read_b128 a[124:127], v20 offset:13312                  // 00000000A724: DBFE3400 7C000014
	v_mfma_f32_16x16x32_bf16 v[142:145], a[172:175], v[42:45], v[142:145]// 00000000A72C: D3B5008E 0E3A55AC
	ds_read_b128 a[128:131], v20 offset:14336                  // 00000000A734: DBFE3800 80000014
	ds_read_b128 a[132:135], v20 offset:15360                  // 00000000A73C: DBFE3C00 84000014
	v_mfma_f32_16x16x32_bf16 v[146:149], a[176:179], v[42:45], v[146:149]// 00000000A744: D3B50092 0E4A55B0
	ds_read_b128 a[136:139], v20 offset:16384                  // 00000000A74C: DBFE4000 88000014
	ds_read_b128 a[140:143], v20 offset:17408                  // 00000000A754: DBFE4400 8C000014
	v_mfma_f32_16x16x32_bf16 v[150:153], a[180:183], v[42:45], v[150:153]// 00000000A75C: D3B50096 0E5A55B4
	v_mfma_f32_16x16x32_bf16 v[154:157], a[184:187], v[42:45], v[154:157]// 00000000A764: D3B5009A 0E6A55B8
	v_mfma_f32_16x16x32_bf16 v[158:161], a[188:191], v[42:45], v[158:161]// 00000000A76C: D3B5009E 0E7A55BC
	v_mfma_f32_16x16x32_bf16 v[162:165], a[192:195], v[42:45], v[162:165]// 00000000A774: D3B500A2 0E8A55C0
	v_mfma_f32_16x16x32_bf16 v[166:169], a[196:199], v[42:45], v[166:169]// 00000000A77C: D3B500A6 0E9A55C4
	v_mfma_f32_16x16x32_bf16 v[170:173], a[200:203], v[42:45], v[170:173]// 00000000A784: D3B500AA 0EAA55C8
	v_mfma_f32_16x16x32_bf16 v[174:177], a[204:207], v[42:45], v[174:177]// 00000000A78C: D3B500AE 0EBA55CC
	s_branch label_8CB8                                        // 00000000A794: BF820288

000000000000a798 <label_8298>:
	s_sub_u32 s56, s71, 2                                      // 00000000A798: 80B88247
	s_mul_i32 s56, s84, s56                                    // 00000000A79C: 92383854
	s_add_u32 s83, s56, s83                                    // 00000000A7A0: 80535338
	s_cmp_le_i32 s83, s82                                      // 00000000A7A4: BF055253
	s_cbranch_scc1 label_83B4                                  // 00000000A7A8: BF850042
	v_mov_b32_e32 v28, s82                                     // 00000000A7AC: 7E380252
	s_cmp_eq_i32 s81, 1                                        // 00000000A7B0: BF008151
	s_cbranch_scc1 label_82D0                                  // 00000000A7B4: BF850006
	s_cmp_eq_i32 s81, 2                                        // 00000000A7B8: BF008251
	s_cbranch_scc1 label_82C8                                  // 00000000A7BC: BF850002
	v_add_u32_e32 v28, s7, v28                                 // 00000000A7C0: 68383807
	s_branch label_82D0                                        // 00000000A7C4: BF820002

000000000000a7c8 <label_82C8>:
	s_lshr_b32 s56, s7, 1                                      // 00000000A7C8: 8F388107
	v_add_u32_e32 v28, s56, v28                                // 00000000A7CC: 68383838

000000000000a7d0 <label_82D0>:
	s_sub_u32 s56, s83, 31                                     // 00000000A7D0: 80B89F53
	v_lshrrev_b32_e32 v18, 4, v0                               // 00000000A7D4: 20240084
	v_mul_i32_i24_e32 v18, 4, v18                              // 00000000A7D8: 0C242484
	v_add_u32_e32 v18, s56, v18                                // 00000000A7DC: 68242438
	v_add_u32_e32 v19, 1, v18                                  // 00000000A7E0: 68262481
	v_add_u32_e32 v20, 2, v18                                  // 00000000A7E4: 68282482
	v_add_u32_e32 v21, 3, v18                                  // 00000000A7E8: 682A2483
	v_mov_b32_e32 v29, 0xff800000                              // 00000000A7EC: 7E3A02FF FF800000
	v_cmp_le_u32_e64 s[36:37], v18, v28                        // 00000000A7F4: D0CB0024 00023912
	v_add_u32_e32 v18, 16, v18                                 // 00000000A7FC: 68242490
	s_nop 0                                                    // 00000000A800: BF800000
	v_cndmask_b32_e64 v34, v29, v34, s[36:37]                  // 00000000A804: D1000022 0092451D
	v_cmp_le_u32_e64 s[36:37], v19, v28                        // 00000000A80C: D0CB0024 00023913
	v_add_u32_e32 v19, 16, v19                                 // 00000000A814: 68262690
	s_nop 0                                                    // 00000000A818: BF800000
	v_cndmask_b32_e64 v35, v29, v35, s[36:37]                  // 00000000A81C: D1000023 0092471D
	v_cmp_le_u32_e64 s[36:37], v20, v28                        // 00000000A824: D0CB0024 00023914
	v_add_u32_e32 v20, 16, v20                                 // 00000000A82C: 68282890
	s_nop 0                                                    // 00000000A830: BF800000
	v_cndmask_b32_e64 v36, v29, v36, s[36:37]                  // 00000000A834: D1000024 0092491D
	v_cmp_le_u32_e64 s[36:37], v21, v28                        // 00000000A83C: D0CB0024 00023915
	v_add_u32_e32 v21, 16, v21                                 // 00000000A844: 682A2A90
	s_nop 0                                                    // 00000000A848: BF800000
	v_cndmask_b32_e64 v37, v29, v37, s[36:37]                  // 00000000A84C: D1000025 00924B1D
	v_cmp_le_u32_e64 s[36:37], v18, v28                        // 00000000A854: D0CB0024 00023912
	v_add_u32_e32 v18, 16, v18                                 // 00000000A85C: 68242490
	s_nop 0                                                    // 00000000A860: BF800000
	v_cndmask_b32_e64 v38, v29, v38, s[36:37]                  // 00000000A864: D1000026 00924D1D
	v_cmp_le_u32_e64 s[36:37], v19, v28                        // 00000000A86C: D0CB0024 00023913
	v_add_u32_e32 v19, 16, v19                                 // 00000000A874: 68262690
	s_nop 0                                                    // 00000000A878: BF800000
	v_cndmask_b32_e64 v39, v29, v39, s[36:37]                  // 00000000A87C: D1000027 00924F1D
	v_cmp_le_u32_e64 s[36:37], v20, v28                        // 00000000A884: D0CB0024 00023914
	v_add_u32_e32 v20, 16, v20                                 // 00000000A88C: 68282890
	s_nop 0                                                    // 00000000A890: BF800000
	v_cndmask_b32_e64 v40, v29, v40, s[36:37]                  // 00000000A894: D1000028 0092511D
	v_cmp_le_u32_e64 s[36:37], v21, v28                        // 00000000A89C: D0CB0024 00023915
	v_add_u32_e32 v21, 16, v21                                 // 00000000A8A4: 682A2A90
	s_nop 0                                                    // 00000000A8A8: BF800000
	v_cndmask_b32_e64 v41, v29, v41, s[36:37]                  // 00000000A8AC: D1000029 0092531D

000000000000a8b4 <label_83B4>:
	s_add_u32 s83, s84, s83                                    // 00000000A8B4: 80535354
	s_nop 2                                                    // 00000000A8B8: BF800002
	v_mov_b32_e32 v29, v34                                     // 00000000A8BC: 7E3A0322
	v_max3_f32 v29, v34, v35, v29                              // 00000000A8C0: D1D3001D 04764722
	v_max3_f32 v29, v36, v37, v29                              // 00000000A8C8: D1D3001D 04764B24
	v_max3_f32 v29, v38, v39, v29                              // 00000000A8D0: D1D3001D 04764F26
	v_max3_f32 v29, v40, v41, v29                              // 00000000A8D8: D1D3001D 04765328
	v_mov_b32_e32 v28, v29                                     // 00000000A8E0: 7E38031D
	v_mov_b32_e32 v29, v29                                     // 00000000A8E4: 7E3A031D
	s_nop 1                                                    // 00000000A8E8: BF800001
	v_permlane16_swap_b32_e32 v28, v29                         // 00000000A8EC: 7E38B31D
	v_mov_b32_e32 v31, v28                                     // 00000000A8F0: 7E3E031C
	v_mov_b32_e32 v30, v29                                     // 00000000A8F4: 7E3C031D
	s_nop 1                                                    // 00000000A8F8: BF800001
	v_permlane32_swap_b32_e32 v28, v29                         // 00000000A8FC: 7E38B51D
	v_permlane32_swap_b32_e32 v30, v31                         // 00000000A900: 7E3CB51F
	v_max3_f32 v29, v28, v29, v29                              // 00000000A904: D1D3001D 04763B1C
	v_max3_f32 v29, v30, v31, v29                              // 00000000A90C: D1D3001D 04763F1E
	v_mov_b32_e32 v28, 0xff800000                              // 00000000A914: 7E3802FF FF800000
	v_cmp_eq_u32_e64 s[36:37], v28, v2                         // 00000000A91C: D0CA0024 0002051C
	v_max_f32_e32 v29, v29, v2                                 // 00000000A924: 163A051D
	v_sub_f32_e32 v16, v2, v29                                 // 00000000A928: 04203B02
	v_cndmask_b32_e64 v16, v16, 0, s[36:37]                    // 00000000A92C: D1000010 00910110
	v_mov_b32_e32 v2, v29                                      // 00000000A934: 7E04031D
	v_mul_f32_e32 v29, s5, v29                                 // 00000000A938: 0A3A3A05
	v_mul_f32_e32 v16, s5, v16                                 // 00000000A93C: 0A202005
	v_exp_f32_e32 v16, v16                                     // 00000000A940: 7E204110
	v_fma_f32 v34, v34, s5, -v29                               // 00000000A944: D1CB0022 84740B22
	v_fma_f32 v35, v35, s5, -v29                               // 00000000A94C: D1CB0023 84740B23
	v_fma_f32 v36, v36, s5, -v29                               // 00000000A954: D1CB0024 84740B24
	v_fma_f32 v37, v37, s5, -v29                               // 00000000A95C: D1CB0025 84740B25
	v_fma_f32 v38, v38, s5, -v29                               // 00000000A964: D1CB0026 84740B26
	v_fma_f32 v39, v39, s5, -v29                               // 00000000A96C: D1CB0027 84740B27
	v_fma_f32 v40, v40, s5, -v29                               // 00000000A974: D1CB0028 84740B28
	v_fma_f32 v41, v41, s5, -v29                               // 00000000A97C: D1CB0029 84740B29
	v_exp_f32_e32 v34, v34                                     // 00000000A984: 7E444122
	v_exp_f32_e32 v35, v35                                     // 00000000A988: 7E464123
	v_exp_f32_e32 v36, v36                                     // 00000000A98C: 7E484124
	v_exp_f32_e32 v37, v37                                     // 00000000A990: 7E4A4125
	v_exp_f32_e32 v38, v38                                     // 00000000A994: 7E4C4126
	v_exp_f32_e32 v39, v39                                     // 00000000A998: 7E4E4127
	v_exp_f32_e32 v40, v40                                     // 00000000A99C: 7E504128
	v_exp_f32_e32 v41, v41                                     // 00000000A9A0: 7E524129
	v_mul_f32_e32 v4, v16, v4                                  // 00000000A9A4: 0A080910
	v_mov_b32_e32 v28, v34                                     // 00000000A9A8: 7E380322
	v_add_f32_e32 v28, v35, v28                                // 00000000A9AC: 02383923
	v_add_f32_e32 v28, v36, v28                                // 00000000A9B0: 02383924
	v_add_f32_e32 v28, v37, v28                                // 00000000A9B4: 02383925
	v_add_f32_e32 v28, v38, v28                                // 00000000A9B8: 02383926
	v_add_f32_e32 v28, v39, v28                                // 00000000A9BC: 02383927
	v_add_f32_e32 v28, v40, v28                                // 00000000A9C0: 02383928
	v_add_f32_e32 v28, v41, v28                                // 00000000A9C4: 02383929
	v_add_f32_e32 v4, v28, v4                                  // 00000000A9C8: 0208091C
	v_cvt_pk_bf16_f32 v34, v34, v35                            // 00000000A9CC: D2680022 00024722
	v_cvt_pk_bf16_f32 v35, v36, v37                            // 00000000A9D4: D2680023 00024B24
	v_cvt_pk_bf16_f32 v36, v38, v39                            // 00000000A9DC: D2680024 00024F26
	v_cvt_pk_bf16_f32 v37, v40, v41                            // 00000000A9E4: D2680025 00025328
	s_nop 0                                                    // 00000000A9EC: BF800000
	v_permlane32_swap_b32_e32 v34, v36                         // 00000000A9F0: 7E44B524
	v_permlane32_swap_b32_e32 v35, v37                         // 00000000A9F4: 7E46B525
	s_nop 0                                                    // 00000000A9F8: BF800000
	v_permlane16_swap_b32_e32 v34, v36                         // 00000000A9FC: 7E44B324
	v_permlane16_swap_b32_e32 v35, v37                         // 00000000AA00: 7E46B325
	s_waitcnt lgkmcnt(4)                                       // 00000000AA04: BF8CC47F
	v_mfma_f32_16x16x32_bf16 v[50:53], a[144:147], v[42:45], v[50:53]// 00000000AA08: D3B50032 0CCA5590
	v_mfma_f32_16x16x32_bf16 v[54:57], a[148:151], v[42:45], v[54:57]// 00000000AA10: D3B50036 0CDA5594
	v_mfma_f32_16x16x32_bf16 v[58:61], a[152:155], v[42:45], v[58:61]// 00000000AA18: D3B5003A 0CEA5598
	v_mfma_f32_16x16x32_bf16 v[62:65], a[156:159], v[42:45], v[62:65]// 00000000AA20: D3B5003E 0CFA559C
	v_mfma_f32_16x16x32_bf16 v[66:69], a[160:163], v[42:45], v[66:69]// 00000000AA28: D3B50042 0D0A55A0
	v_mfma_f32_16x16x32_bf16 v[70:73], a[164:167], v[42:45], v[70:73]// 00000000AA30: D3B50046 0D1A55A4
	v_mfma_f32_16x16x32_bf16 v[74:77], a[168:171], v[42:45], v[74:77]// 00000000AA38: D3B5004A 0D2A55A8
	v_mfma_f32_16x16x32_bf16 v[78:81], a[172:175], v[42:45], v[78:81]// 00000000AA40: D3B5004E 0D3A55AC
	v_mfma_f32_16x16x32_bf16 v[82:85], a[176:179], v[42:45], v[82:85]// 00000000AA48: D3B50052 0D4A55B0
	v_mfma_f32_16x16x32_bf16 v[86:89], a[180:183], v[42:45], v[86:89]// 00000000AA50: D3B50056 0D5A55B4
	v_mfma_f32_16x16x32_bf16 v[90:93], a[184:187], v[42:45], v[90:93]// 00000000AA58: D3B5005A 0D6A55B8
	v_mfma_f32_16x16x32_bf16 v[94:97], a[188:191], v[42:45], v[94:97]// 00000000AA60: D3B5005E 0D7A55BC
	v_mfma_f32_16x16x32_bf16 v[98:101], a[192:195], v[42:45], v[98:101]// 00000000AA68: D3B50062 0D8A55C0
	v_mfma_f32_16x16x32_bf16 v[102:105], a[196:199], v[42:45], v[102:105]// 00000000AA70: D3B50066 0D9A55C4
	v_mfma_f32_16x16x32_bf16 v[106:109], a[200:203], v[42:45], v[106:109]// 00000000AA78: D3B5006A 0DAA55C8
	v_mfma_f32_16x16x32_bf16 v[110:113], a[204:207], v[42:45], v[110:113]// 00000000AA80: D3B5006E 0DBA55CC
	ds_read_b64_tr_b16 a[144:145], v10 offset:8192             // 00000000AA88: DBC62000 9000000A
	ds_read_b64_tr_b16 a[146:147], v10 offset:8448             // 00000000AA90: DBC62100 9200000A
	ds_read_b64_tr_b16 a[148:149], v11 offset:8192             // 00000000AA98: DBC62000 9400000B
	ds_read_b64_tr_b16 a[150:151], v11 offset:8448             // 00000000AAA0: DBC62100 9600000B
	ds_read_b64_tr_b16 a[152:153], v10 offset:9216             // 00000000AAA8: DBC62400 9800000A
	ds_read_b64_tr_b16 a[154:155], v10 offset:9472             // 00000000AAB0: DBC62500 9A00000A
	ds_read_b64_tr_b16 a[156:157], v11 offset:9216             // 00000000AAB8: DBC62400 9C00000B
	ds_read_b64_tr_b16 a[158:159], v11 offset:9472             // 00000000AAC0: DBC62500 9E00000B
	ds_read_b64_tr_b16 a[160:161], v10 offset:10240            // 00000000AAC8: DBC62800 A000000A
	ds_read_b64_tr_b16 a[162:163], v10 offset:10496            // 00000000AAD0: DBC62900 A200000A
	ds_read_b64_tr_b16 a[164:165], v11 offset:10240            // 00000000AAD8: DBC62800 A400000B
	ds_read_b64_tr_b16 a[166:167], v11 offset:10496            // 00000000AAE0: DBC62900 A600000B
	ds_read_b64_tr_b16 a[168:169], v10 offset:11264            // 00000000AAE8: DBC62C00 A800000A
	ds_read_b64_tr_b16 a[170:171], v10 offset:11520            // 00000000AAF0: DBC62D00 AA00000A
	ds_read_b64_tr_b16 a[172:173], v11 offset:11264            // 00000000AAF8: DBC62C00 AC00000B
	ds_read_b64_tr_b16 a[174:175], v11 offset:11520            // 00000000AB00: DBC62D00 AE00000B
	ds_read_b64_tr_b16 a[176:177], v10 offset:12288            // 00000000AB08: DBC63000 B000000A
	ds_read_b64_tr_b16 a[178:179], v10 offset:12544            // 00000000AB10: DBC63100 B200000A
	ds_read_b64_tr_b16 a[180:181], v11 offset:12288            // 00000000AB18: DBC63000 B400000B
	ds_read_b64_tr_b16 a[182:183], v11 offset:12544            // 00000000AB20: DBC63100 B600000B
	ds_read_b64_tr_b16 a[184:185], v10 offset:13312            // 00000000AB28: DBC63400 B800000A
	ds_read_b64_tr_b16 a[186:187], v10 offset:13568            // 00000000AB30: DBC63500 BA00000A
	ds_read_b64_tr_b16 a[188:189], v11 offset:13312            // 00000000AB38: DBC63400 BC00000B
	ds_read_b64_tr_b16 a[190:191], v11 offset:13568            // 00000000AB40: DBC63500 BE00000B
	ds_read_b64_tr_b16 a[192:193], v10 offset:14336            // 00000000AB48: DBC63800 C000000A
	ds_read_b64_tr_b16 a[194:195], v10 offset:14592            // 00000000AB50: DBC63900 C200000A
	ds_read_b64_tr_b16 a[196:197], v11 offset:14336            // 00000000AB58: DBC63800 C400000B
	ds_read_b64_tr_b16 a[198:199], v11 offset:14592            // 00000000AB60: DBC63900 C600000B
	ds_read_b64_tr_b16 a[200:201], v10 offset:15360            // 00000000AB68: DBC63C00 C800000A
	ds_read_b64_tr_b16 a[202:203], v10 offset:15616            // 00000000AB70: DBC63D00 CA00000A
	ds_read_b64_tr_b16 a[204:205], v11 offset:15360            // 00000000AB78: DBC63C00 CC00000B
	ds_read_b64_tr_b16 a[206:207], v11 offset:15616            // 00000000AB80: DBC63D00 CE00000B
	s_waitcnt lgkmcnt(0)                                       // 00000000AB88: BF8CC07F
	v_mfma_f32_16x16x32_bf16 v[114:117], a[144:147], v[42:45], v[114:117]// 00000000AB8C: D3B50072 0DCA5590
	v_mfma_f32_16x16x32_bf16 v[118:121], a[148:151], v[42:45], v[118:121]// 00000000AB94: D3B50076 0DDA5594
	v_mfma_f32_16x16x32_bf16 v[122:125], a[152:155], v[42:45], v[122:125]// 00000000AB9C: D3B5007A 0DEA5598
	v_mfma_f32_16x16x32_bf16 v[126:129], a[156:159], v[42:45], v[126:129]// 00000000ABA4: D3B5007E 0DFA559C
	v_mfma_f32_16x16x32_bf16 v[130:133], a[160:163], v[42:45], v[130:133]// 00000000ABAC: D3B50082 0E0A55A0
	v_mfma_f32_16x16x32_bf16 v[134:137], a[164:167], v[42:45], v[134:137]// 00000000ABB4: D3B50086 0E1A55A4
	v_mfma_f32_16x16x32_bf16 v[138:141], a[168:171], v[42:45], v[138:141]// 00000000ABBC: D3B5008A 0E2A55A8
	v_mfma_f32_16x16x32_bf16 v[142:145], a[172:175], v[42:45], v[142:145]// 00000000ABC4: D3B5008E 0E3A55AC
	v_mfma_f32_16x16x32_bf16 v[146:149], a[176:179], v[42:45], v[146:149]// 00000000ABCC: D3B50092 0E4A55B0
	v_mfma_f32_16x16x32_bf16 v[150:153], a[180:183], v[42:45], v[150:153]// 00000000ABD4: D3B50096 0E5A55B4
	v_mfma_f32_16x16x32_bf16 v[154:157], a[184:187], v[42:45], v[154:157]// 00000000ABDC: D3B5009A 0E6A55B8
	v_mfma_f32_16x16x32_bf16 v[158:161], a[188:191], v[42:45], v[158:161]// 00000000ABE4: D3B5009E 0E7A55BC
	v_mfma_f32_16x16x32_bf16 v[162:165], a[192:195], v[42:45], v[162:165]// 00000000ABEC: D3B500A2 0E8A55C0
	v_mfma_f32_16x16x32_bf16 v[166:169], a[196:199], v[42:45], v[166:169]// 00000000ABF4: D3B500A6 0E9A55C4
	v_mfma_f32_16x16x32_bf16 v[170:173], a[200:203], v[42:45], v[170:173]// 00000000ABFC: D3B500AA 0EAA55C8
	v_mfma_f32_16x16x32_bf16 v[174:177], a[204:207], v[42:45], v[174:177]// 00000000AC04: D3B500AE 0EBA55CC
	ds_read_b64_tr_b16 a[144:145], v12                         // 00000000AC0C: DBC60000 9000000C
	ds_read_b64_tr_b16 a[146:147], v12 offset:256              // 00000000AC14: DBC60100 9200000C
	ds_read_b64_tr_b16 a[148:149], v13                         // 00000000AC1C: DBC60000 9400000D
	ds_read_b64_tr_b16 a[150:151], v13 offset:256              // 00000000AC24: DBC60100 9600000D
	ds_read_b64_tr_b16 a[152:153], v12 offset:1024             // 00000000AC2C: DBC60400 9800000C
	ds_read_b64_tr_b16 a[154:155], v12 offset:1280             // 00000000AC34: DBC60500 9A00000C
	ds_read_b64_tr_b16 a[156:157], v13 offset:1024             // 00000000AC3C: DBC60400 9C00000D
	ds_read_b64_tr_b16 a[158:159], v13 offset:1280             // 00000000AC44: DBC60500 9E00000D
	ds_read_b64_tr_b16 a[160:161], v12 offset:2048             // 00000000AC4C: DBC60800 A000000C
	ds_read_b64_tr_b16 a[162:163], v12 offset:2304             // 00000000AC54: DBC60900 A200000C
	ds_read_b64_tr_b16 a[164:165], v13 offset:2048             // 00000000AC5C: DBC60800 A400000D
	ds_read_b64_tr_b16 a[166:167], v13 offset:2304             // 00000000AC64: DBC60900 A600000D
	ds_read_b64_tr_b16 a[168:169], v12 offset:3072             // 00000000AC6C: DBC60C00 A800000C
	ds_read_b64_tr_b16 a[170:171], v12 offset:3328             // 00000000AC74: DBC60D00 AA00000C
	ds_read_b64_tr_b16 a[172:173], v13 offset:3072             // 00000000AC7C: DBC60C00 AC00000D
	ds_read_b64_tr_b16 a[174:175], v13 offset:3328             // 00000000AC84: DBC60D00 AE00000D
	ds_read_b64_tr_b16 a[176:177], v12 offset:4096             // 00000000AC8C: DBC61000 B000000C
	ds_read_b64_tr_b16 a[178:179], v12 offset:4352             // 00000000AC94: DBC61100 B200000C
	ds_read_b64_tr_b16 a[180:181], v13 offset:4096             // 00000000AC9C: DBC61000 B400000D
	ds_read_b64_tr_b16 a[182:183], v13 offset:4352             // 00000000ACA4: DBC61100 B600000D
	ds_read_b64_tr_b16 a[184:185], v12 offset:5120             // 00000000ACAC: DBC61400 B800000C
	ds_read_b64_tr_b16 a[186:187], v12 offset:5376             // 00000000ACB4: DBC61500 BA00000C
	ds_read_b64_tr_b16 a[188:189], v13 offset:5120             // 00000000ACBC: DBC61400 BC00000D
	ds_read_b64_tr_b16 a[190:191], v13 offset:5376             // 00000000ACC4: DBC61500 BE00000D
	ds_read_b64_tr_b16 a[192:193], v12 offset:6144             // 00000000ACCC: DBC61800 C000000C
	ds_read_b64_tr_b16 a[194:195], v12 offset:6400             // 00000000ACD4: DBC61900 C200000C
	ds_read_b64_tr_b16 a[196:197], v13 offset:6144             // 00000000ACDC: DBC61800 C400000D
	ds_read_b64_tr_b16 a[198:199], v13 offset:6400             // 00000000ACE4: DBC61900 C600000D
	ds_read_b64_tr_b16 a[200:201], v12 offset:7168             // 00000000ACEC: DBC61C00 C800000C
	ds_read_b64_tr_b16 a[202:203], v12 offset:7424             // 00000000ACF4: DBC61D00 CA00000C
	ds_read_b64_tr_b16 a[204:205], v13 offset:7168             // 00000000ACFC: DBC61C00 CC00000D
	ds_read_b64_tr_b16 a[206:207], v13 offset:7424             // 00000000AD04: DBC61D00 CE00000D
	v_mov_b32_e32 v30, v16                                     // 00000000AD0C: 7E3C0310
	v_mov_b32_e32 v31, v16                                     // 00000000AD10: 7E3E0310
	v_pk_mul_f32 v[50:51], v[30:31], v[50:51]                  // 00000000AD14: D3B14032 1802651E
	v_pk_mul_f32 v[52:53], v[30:31], v[52:53]                  // 00000000AD1C: D3B14034 1802691E
	v_pk_mul_f32 v[54:55], v[30:31], v[54:55]                  // 00000000AD24: D3B14036 18026D1E
	v_pk_mul_f32 v[56:57], v[30:31], v[56:57]                  // 00000000AD2C: D3B14038 1802711E
	v_pk_mul_f32 v[58:59], v[30:31], v[58:59]                  // 00000000AD34: D3B1403A 1802751E
	v_pk_mul_f32 v[60:61], v[30:31], v[60:61]                  // 00000000AD3C: D3B1403C 1802791E
	v_pk_mul_f32 v[62:63], v[30:31], v[62:63]                  // 00000000AD44: D3B1403E 18027D1E
	v_pk_mul_f32 v[64:65], v[30:31], v[64:65]                  // 00000000AD4C: D3B14040 1802811E
	v_pk_mul_f32 v[66:67], v[30:31], v[66:67]                  // 00000000AD54: D3B14042 1802851E
	v_pk_mul_f32 v[68:69], v[30:31], v[68:69]                  // 00000000AD5C: D3B14044 1802891E
	v_pk_mul_f32 v[70:71], v[30:31], v[70:71]                  // 00000000AD64: D3B14046 18028D1E
	v_pk_mul_f32 v[72:73], v[30:31], v[72:73]                  // 00000000AD6C: D3B14048 1802911E
	v_pk_mul_f32 v[74:75], v[30:31], v[74:75]                  // 00000000AD74: D3B1404A 1802951E
	v_pk_mul_f32 v[76:77], v[30:31], v[76:77]                  // 00000000AD7C: D3B1404C 1802991E
	v_pk_mul_f32 v[78:79], v[30:31], v[78:79]                  // 00000000AD84: D3B1404E 18029D1E
	v_pk_mul_f32 v[80:81], v[30:31], v[80:81]                  // 00000000AD8C: D3B14050 1802A11E
	v_pk_mul_f32 v[82:83], v[30:31], v[82:83]                  // 00000000AD94: D3B14052 1802A51E
	v_pk_mul_f32 v[84:85], v[30:31], v[84:85]                  // 00000000AD9C: D3B14054 1802A91E
	v_pk_mul_f32 v[86:87], v[30:31], v[86:87]                  // 00000000ADA4: D3B14056 1802AD1E
	v_pk_mul_f32 v[88:89], v[30:31], v[88:89]                  // 00000000ADAC: D3B14058 1802B11E
	v_pk_mul_f32 v[90:91], v[30:31], v[90:91]                  // 00000000ADB4: D3B1405A 1802B51E
	v_pk_mul_f32 v[92:93], v[30:31], v[92:93]                  // 00000000ADBC: D3B1405C 1802B91E
	v_pk_mul_f32 v[94:95], v[30:31], v[94:95]                  // 00000000ADC4: D3B1405E 1802BD1E
	v_pk_mul_f32 v[96:97], v[30:31], v[96:97]                  // 00000000ADCC: D3B14060 1802C11E
	v_pk_mul_f32 v[98:99], v[30:31], v[98:99]                  // 00000000ADD4: D3B14062 1802C51E
	v_pk_mul_f32 v[100:101], v[30:31], v[100:101]              // 00000000ADDC: D3B14064 1802C91E
	v_pk_mul_f32 v[102:103], v[30:31], v[102:103]              // 00000000ADE4: D3B14066 1802CD1E
	v_pk_mul_f32 v[104:105], v[30:31], v[104:105]              // 00000000ADEC: D3B14068 1802D11E
	v_pk_mul_f32 v[106:107], v[30:31], v[106:107]              // 00000000ADF4: D3B1406A 1802D51E
	v_pk_mul_f32 v[108:109], v[30:31], v[108:109]              // 00000000ADFC: D3B1406C 1802D91E
	v_pk_mul_f32 v[110:111], v[30:31], v[110:111]              // 00000000AE04: D3B1406E 1802DD1E
	v_pk_mul_f32 v[112:113], v[30:31], v[112:113]              // 00000000AE0C: D3B14070 1802E11E
	v_pk_mul_f32 v[114:115], v[30:31], v[114:115]              // 00000000AE14: D3B14072 1802E51E
	v_pk_mul_f32 v[116:117], v[30:31], v[116:117]              // 00000000AE1C: D3B14074 1802E91E
	v_pk_mul_f32 v[118:119], v[30:31], v[118:119]              // 00000000AE24: D3B14076 1802ED1E
	v_pk_mul_f32 v[120:121], v[30:31], v[120:121]              // 00000000AE2C: D3B14078 1802F11E
	v_pk_mul_f32 v[122:123], v[30:31], v[122:123]              // 00000000AE34: D3B1407A 1802F51E
	v_pk_mul_f32 v[124:125], v[30:31], v[124:125]              // 00000000AE3C: D3B1407C 1802F91E
	v_pk_mul_f32 v[126:127], v[30:31], v[126:127]              // 00000000AE44: D3B1407E 1802FD1E
	v_pk_mul_f32 v[128:129], v[30:31], v[128:129]              // 00000000AE4C: D3B14080 1803011E
	v_pk_mul_f32 v[130:131], v[30:31], v[130:131]              // 00000000AE54: D3B14082 1803051E
	v_pk_mul_f32 v[132:133], v[30:31], v[132:133]              // 00000000AE5C: D3B14084 1803091E
	v_pk_mul_f32 v[134:135], v[30:31], v[134:135]              // 00000000AE64: D3B14086 18030D1E
	v_pk_mul_f32 v[136:137], v[30:31], v[136:137]              // 00000000AE6C: D3B14088 1803111E
	v_pk_mul_f32 v[138:139], v[30:31], v[138:139]              // 00000000AE74: D3B1408A 1803151E
	v_pk_mul_f32 v[140:141], v[30:31], v[140:141]              // 00000000AE7C: D3B1408C 1803191E
	v_pk_mul_f32 v[142:143], v[30:31], v[142:143]              // 00000000AE84: D3B1408E 18031D1E
	v_pk_mul_f32 v[144:145], v[30:31], v[144:145]              // 00000000AE8C: D3B14090 1803211E
	v_pk_mul_f32 v[146:147], v[30:31], v[146:147]              // 00000000AE94: D3B14092 1803251E
	v_pk_mul_f32 v[148:149], v[30:31], v[148:149]              // 00000000AE9C: D3B14094 1803291E
	v_pk_mul_f32 v[150:151], v[30:31], v[150:151]              // 00000000AEA4: D3B14096 18032D1E
	v_pk_mul_f32 v[152:153], v[30:31], v[152:153]              // 00000000AEAC: D3B14098 1803311E
	v_pk_mul_f32 v[154:155], v[30:31], v[154:155]              // 00000000AEB4: D3B1409A 1803351E
	v_pk_mul_f32 v[156:157], v[30:31], v[156:157]              // 00000000AEBC: D3B1409C 1803391E
	v_pk_mul_f32 v[158:159], v[30:31], v[158:159]              // 00000000AEC4: D3B1409E 18033D1E
	v_pk_mul_f32 v[160:161], v[30:31], v[160:161]              // 00000000AECC: D3B140A0 1803411E
	v_pk_mul_f32 v[162:163], v[30:31], v[162:163]              // 00000000AED4: D3B140A2 1803451E
	v_pk_mul_f32 v[164:165], v[30:31], v[164:165]              // 00000000AEDC: D3B140A4 1803491E
	v_pk_mul_f32 v[166:167], v[30:31], v[166:167]              // 00000000AEE4: D3B140A6 18034D1E
	v_pk_mul_f32 v[168:169], v[30:31], v[168:169]              // 00000000AEEC: D3B140A8 1803511E
	v_pk_mul_f32 v[170:171], v[30:31], v[170:171]              // 00000000AEF4: D3B140AA 1803551E
	v_pk_mul_f32 v[172:173], v[30:31], v[172:173]              // 00000000AEFC: D3B140AC 1803591E
	v_pk_mul_f32 v[174:175], v[30:31], v[174:175]              // 00000000AF04: D3B140AE 18035D1E
	v_pk_mul_f32 v[176:177], v[30:31], v[176:177]              // 00000000AF0C: D3B140B0 1803611E
	s_waitcnt lgkmcnt(4)                                       // 00000000AF14: BF8CC47F
	v_mfma_f32_16x16x32_bf16 v[50:53], a[144:147], v[34:37], v[50:53]// 00000000AF18: D3B50032 0CCA4590
	v_mfma_f32_16x16x32_bf16 v[54:57], a[148:151], v[34:37], v[54:57]// 00000000AF20: D3B50036 0CDA4594
	v_mfma_f32_16x16x32_bf16 v[58:61], a[152:155], v[34:37], v[58:61]// 00000000AF28: D3B5003A 0CEA4598
	v_mfma_f32_16x16x32_bf16 v[62:65], a[156:159], v[34:37], v[62:65]// 00000000AF30: D3B5003E 0CFA459C
	v_mfma_f32_16x16x32_bf16 v[66:69], a[160:163], v[34:37], v[66:69]// 00000000AF38: D3B50042 0D0A45A0
	v_mfma_f32_16x16x32_bf16 v[70:73], a[164:167], v[34:37], v[70:73]// 00000000AF40: D3B50046 0D1A45A4
	v_mfma_f32_16x16x32_bf16 v[74:77], a[168:171], v[34:37], v[74:77]// 00000000AF48: D3B5004A 0D2A45A8
	v_mfma_f32_16x16x32_bf16 v[78:81], a[172:175], v[34:37], v[78:81]// 00000000AF50: D3B5004E 0D3A45AC
	v_mfma_f32_16x16x32_bf16 v[82:85], a[176:179], v[34:37], v[82:85]// 00000000AF58: D3B50052 0D4A45B0
	v_mfma_f32_16x16x32_bf16 v[86:89], a[180:183], v[34:37], v[86:89]// 00000000AF60: D3B50056 0D5A45B4
	v_mfma_f32_16x16x32_bf16 v[90:93], a[184:187], v[34:37], v[90:93]// 00000000AF68: D3B5005A 0D6A45B8
	v_mfma_f32_16x16x32_bf16 v[94:97], a[188:191], v[34:37], v[94:97]// 00000000AF70: D3B5005E 0D7A45BC
	v_mfma_f32_16x16x32_bf16 v[98:101], a[192:195], v[34:37], v[98:101]// 00000000AF78: D3B50062 0D8A45C0
	v_mfma_f32_16x16x32_bf16 v[102:105], a[196:199], v[34:37], v[102:105]// 00000000AF80: D3B50066 0D9A45C4
	v_mfma_f32_16x16x32_bf16 v[106:109], a[200:203], v[34:37], v[106:109]// 00000000AF88: D3B5006A 0DAA45C8
	v_mfma_f32_16x16x32_bf16 v[110:113], a[204:207], v[34:37], v[110:113]// 00000000AF90: D3B5006E 0DBA45CC
	ds_read_b64_tr_b16 a[144:145], v12 offset:8192             // 00000000AF98: DBC62000 9000000C
	ds_read_b64_tr_b16 a[146:147], v12 offset:8448             // 00000000AFA0: DBC62100 9200000C
	ds_read_b64_tr_b16 a[148:149], v13 offset:8192             // 00000000AFA8: DBC62000 9400000D
	ds_read_b64_tr_b16 a[150:151], v13 offset:8448             // 00000000AFB0: DBC62100 9600000D
	ds_read_b64_tr_b16 a[152:153], v12 offset:9216             // 00000000AFB8: DBC62400 9800000C
	ds_read_b64_tr_b16 a[154:155], v12 offset:9472             // 00000000AFC0: DBC62500 9A00000C
	ds_read_b64_tr_b16 a[156:157], v13 offset:9216             // 00000000AFC8: DBC62400 9C00000D
	ds_read_b64_tr_b16 a[158:159], v13 offset:9472             // 00000000AFD0: DBC62500 9E00000D
	ds_read_b64_tr_b16 a[160:161], v12 offset:10240            // 00000000AFD8: DBC62800 A000000C
	ds_read_b64_tr_b16 a[162:163], v12 offset:10496            // 00000000AFE0: DBC62900 A200000C
	ds_read_b64_tr_b16 a[164:165], v13 offset:10240            // 00000000AFE8: DBC62800 A400000D
	ds_read_b64_tr_b16 a[166:167], v13 offset:10496            // 00000000AFF0: DBC62900 A600000D
	ds_read_b64_tr_b16 a[168:169], v12 offset:11264            // 00000000AFF8: DBC62C00 A800000C
	ds_read_b64_tr_b16 a[170:171], v12 offset:11520            // 00000000B000: DBC62D00 AA00000C
	ds_read_b64_tr_b16 a[172:173], v13 offset:11264            // 00000000B008: DBC62C00 AC00000D
	ds_read_b64_tr_b16 a[174:175], v13 offset:11520            // 00000000B010: DBC62D00 AE00000D
	ds_read_b64_tr_b16 a[176:177], v12 offset:12288            // 00000000B018: DBC63000 B000000C
	ds_read_b64_tr_b16 a[178:179], v12 offset:12544            // 00000000B020: DBC63100 B200000C
	ds_read_b64_tr_b16 a[180:181], v13 offset:12288            // 00000000B028: DBC63000 B400000D
	ds_read_b64_tr_b16 a[182:183], v13 offset:12544            // 00000000B030: DBC63100 B600000D
	ds_read_b64_tr_b16 a[184:185], v12 offset:13312            // 00000000B038: DBC63400 B800000C
	ds_read_b64_tr_b16 a[186:187], v12 offset:13568            // 00000000B040: DBC63500 BA00000C
	ds_read_b64_tr_b16 a[188:189], v13 offset:13312            // 00000000B048: DBC63400 BC00000D
	ds_read_b64_tr_b16 a[190:191], v13 offset:13568            // 00000000B050: DBC63500 BE00000D
	ds_read_b64_tr_b16 a[192:193], v12 offset:14336            // 00000000B058: DBC63800 C000000C
	ds_read_b64_tr_b16 a[194:195], v12 offset:14592            // 00000000B060: DBC63900 C200000C
	ds_read_b64_tr_b16 a[196:197], v13 offset:14336            // 00000000B068: DBC63800 C400000D
	ds_read_b64_tr_b16 a[198:199], v13 offset:14592            // 00000000B070: DBC63900 C600000D
	ds_read_b64_tr_b16 a[200:201], v12 offset:15360            // 00000000B078: DBC63C00 C800000C
	ds_read_b64_tr_b16 a[202:203], v12 offset:15616            // 00000000B080: DBC63D00 CA00000C
	ds_read_b64_tr_b16 a[204:205], v13 offset:15360            // 00000000B088: DBC63C00 CC00000D
	ds_read_b64_tr_b16 a[206:207], v13 offset:15616            // 00000000B090: DBC63D00 CE00000D
	s_waitcnt vmcnt(0)                                         // 00000000B098: BF8C0F70
	s_barrier                                                  // 00000000B09C: BF8A0000
	s_waitcnt lgkmcnt(0)                                       // 00000000B0A0: BF8CC07F
	v_mfma_f32_16x16x32_bf16 v[114:117], a[144:147], v[34:37], v[114:117]// 00000000B0A4: D3B50072 0DCA4590
	ds_read_b128 a[72:75], v21                                 // 00000000B0AC: DBFE0000 48000015
	ds_read_b128 a[76:79], v21 offset:1024                     // 00000000B0B4: DBFE0400 4C000015
	v_mfma_f32_16x16x32_bf16 v[118:121], a[148:151], v[34:37], v[118:121]// 00000000B0BC: D3B50076 0DDA4594
	ds_read_b128 a[80:83], v21 offset:2048                     // 00000000B0C4: DBFE0800 50000015
	ds_read_b128 a[84:87], v21 offset:3072                     // 00000000B0CC: DBFE0C00 54000015
	v_mfma_f32_16x16x32_bf16 v[122:125], a[152:155], v[34:37], v[122:125]// 00000000B0D4: D3B5007A 0DEA4598
	ds_read_b128 a[88:91], v21 offset:4096                     // 00000000B0DC: DBFE1000 58000015
	ds_read_b128 a[92:95], v21 offset:5120                     // 00000000B0E4: DBFE1400 5C000015
	v_mfma_f32_16x16x32_bf16 v[126:129], a[156:159], v[34:37], v[126:129]// 00000000B0EC: D3B5007E 0DFA459C
	ds_read_b128 a[96:99], v21 offset:6144                     // 00000000B0F4: DBFE1800 60000015
	ds_read_b128 a[100:103], v21 offset:7168                   // 00000000B0FC: DBFE1C00 64000015
	v_mfma_f32_16x16x32_bf16 v[130:133], a[160:163], v[34:37], v[130:133]// 00000000B104: D3B50082 0E0A45A0
	ds_read_b128 a[104:107], v21 offset:8192                   // 00000000B10C: DBFE2000 68000015
	ds_read_b128 a[108:111], v21 offset:9216                   // 00000000B114: DBFE2400 6C000015
	v_mfma_f32_16x16x32_bf16 v[134:137], a[164:167], v[34:37], v[134:137]// 00000000B11C: D3B50086 0E1A45A4
	ds_read_b128 a[112:115], v21 offset:10240                  // 00000000B124: DBFE2800 70000015
	ds_read_b128 a[116:119], v21 offset:11264                  // 00000000B12C: DBFE2C00 74000015
	v_mfma_f32_16x16x32_bf16 v[138:141], a[168:171], v[34:37], v[138:141]// 00000000B134: D3B5008A 0E2A45A8
	ds_read_b128 a[120:123], v21 offset:12288                  // 00000000B13C: DBFE3000 78000015
	ds_read_b128 a[124:127], v21 offset:13312                  // 00000000B144: DBFE3400 7C000015
	v_mfma_f32_16x16x32_bf16 v[142:145], a[172:175], v[34:37], v[142:145]// 00000000B14C: D3B5008E 0E3A45AC
	ds_read_b128 a[128:131], v21 offset:14336                  // 00000000B154: DBFE3800 80000015
	ds_read_b128 a[132:135], v21 offset:15360                  // 00000000B15C: DBFE3C00 84000015
	v_mfma_f32_16x16x32_bf16 v[146:149], a[176:179], v[34:37], v[146:149]// 00000000B164: D3B50092 0E4A45B0
	ds_read_b128 a[136:139], v21 offset:16384                  // 00000000B16C: DBFE4000 88000015
	ds_read_b128 a[140:143], v21 offset:17408                  // 00000000B174: DBFE4400 8C000015
	v_mfma_f32_16x16x32_bf16 v[150:153], a[180:183], v[34:37], v[150:153]// 00000000B17C: D3B50096 0E5A45B4
	v_mfma_f32_16x16x32_bf16 v[154:157], a[184:187], v[34:37], v[154:157]// 00000000B184: D3B5009A 0E6A45B8
	v_mfma_f32_16x16x32_bf16 v[158:161], a[188:191], v[34:37], v[158:161]// 00000000B18C: D3B5009E 0E7A45BC
	v_mfma_f32_16x16x32_bf16 v[162:165], a[192:195], v[34:37], v[162:165]// 00000000B194: D3B500A2 0E8A45C0
	v_mfma_f32_16x16x32_bf16 v[166:169], a[196:199], v[34:37], v[166:169]// 00000000B19C: D3B500A6 0E9A45C4
	v_mfma_f32_16x16x32_bf16 v[170:173], a[200:203], v[34:37], v[170:173]// 00000000B1A4: D3B500AA 0EAA45C8
	v_mfma_f32_16x16x32_bf16 v[174:177], a[204:207], v[34:37], v[174:177]// 00000000B1AC: D3B500AE 0EBA45CC
	s_branch label_8CB8                                        // 00000000B1B4: BF820000

000000000000b1b8 <label_8CB8>:
	s_cmp_eq_i32 s48, 0                                        // 00000000B1B8: BF008030
	s_cbranch_scc1 label_B75C                                  // 00000000B1BC: BF850A25

000000000000b1c0 <label_8CC0>:
	s_and_b32 s56, 3, s71                                      // 00000000B1C0: 86384783
	s_cmp_eq_i32 s56, 0                                        // 00000000B1C4: BF008038
	s_cbranch_scc1 label_A11C                                  // 00000000B1C8: BF850514
	s_cmp_eq_i32 s56, 1                                        // 00000000B1CC: BF008138
	s_cbranch_scc1 label_AB38                                  // 00000000B1D0: BF850799
	s_cmp_eq_i32 s56, 3                                        // 00000000B1D4: BF008338
	s_cbranch_scc1 label_9700                                  // 00000000B1D8: BF850289
	s_cmp_eq_i32 s56, 2                                        // 00000000B1DC: BF008238
	s_cbranch_scc1 label_8CE4                                  // 00000000B1E0: BF850000

000000000000b1e4 <label_8CE4>:
	s_waitcnt lgkmcnt(0)                                       // 00000000B1E4: BF8CC07F
	v_mfma_f32_16x16x32_bf16 v[34:37], a[72:75], a[0:3], 0     // 00000000B1E8: D3B50022 1A020148
	v_mfma_f32_16x16x32_bf16 v[34:37], a[76:79], a[4:7], v[34:37]// 00000000B1F0: D3B50022 1C8A094C
	v_mfma_f32_16x16x32_bf16 v[34:37], a[80:83], a[8:11], v[34:37]// 00000000B1F8: D3B50022 1C8A1150
	v_mfma_f32_16x16x32_bf16 v[34:37], a[84:87], a[12:15], v[34:37]// 00000000B200: D3B50022 1C8A1954
	v_mfma_f32_16x16x32_bf16 v[34:37], a[88:91], a[16:19], v[34:37]// 00000000B208: D3B50022 1C8A2158
	v_mfma_f32_16x16x32_bf16 v[34:37], a[92:95], a[20:23], v[34:37]// 00000000B210: D3B50022 1C8A295C
	v_mfma_f32_16x16x32_bf16 v[34:37], a[96:99], a[24:27], v[34:37]// 00000000B218: D3B50022 1C8A3160
	v_mfma_f32_16x16x32_bf16 v[34:37], a[100:103], a[28:31], v[34:37]// 00000000B220: D3B50022 1C8A3964
	ds_read_b128 a[72:75], v18 offset:18432                    // 00000000B228: DBFE4800 48000012
	ds_read_b128 a[76:79], v18 offset:19456                    // 00000000B230: DBFE4C00 4C000012
	v_mfma_f32_16x16x32_bf16 v[34:37], a[104:107], a[32:35], v[34:37]// 00000000B238: D3B50022 1C8A4168
	v_mfma_f32_16x16x32_bf16 v[34:37], a[108:111], a[36:39], v[34:37]// 00000000B240: D3B50022 1C8A496C
	ds_read_b128 a[80:83], v18 offset:20480                    // 00000000B248: DBFE5000 50000012
	ds_read_b128 a[84:87], v18 offset:21504                    // 00000000B250: DBFE5400 54000012
	v_mfma_f32_16x16x32_bf16 v[34:37], a[112:115], a[40:43], v[34:37]// 00000000B258: D3B50022 1C8A5170
	v_mfma_f32_16x16x32_bf16 v[34:37], a[116:119], a[44:47], v[34:37]// 00000000B260: D3B50022 1C8A5974
	ds_read_b128 a[88:91], v18 offset:22528                    // 00000000B268: DBFE5800 58000012
	ds_read_b128 a[92:95], v18 offset:23552                    // 00000000B270: DBFE5C00 5C000012
	v_mfma_f32_16x16x32_bf16 v[34:37], a[120:123], a[48:51], v[34:37]// 00000000B278: D3B50022 1C8A6178
	v_mfma_f32_16x16x32_bf16 v[34:37], a[124:127], a[52:55], v[34:37]// 00000000B280: D3B50022 1C8A697C
	ds_read_b128 a[96:99], v18 offset:24576                    // 00000000B288: DBFE6000 60000012
	ds_read_b128 a[100:103], v18 offset:25600                  // 00000000B290: DBFE6400 64000012
	v_mfma_f32_16x16x32_bf16 v[34:37], a[128:131], a[56:59], v[34:37]// 00000000B298: D3B50022 1C8A7180
	v_mfma_f32_16x16x32_bf16 v[34:37], a[132:135], a[60:63], v[34:37]// 00000000B2A0: D3B50022 1C8A7984
	ds_read_b128 a[104:107], v18 offset:26624                  // 00000000B2A8: DBFE6800 68000012
	ds_read_b128 a[108:111], v18 offset:27648                  // 00000000B2B0: DBFE6C00 6C000012
	v_mfma_f32_16x16x32_bf16 v[34:37], a[136:139], a[64:67], v[34:37]// 00000000B2B8: D3B50022 1C8A8188
	v_mfma_f32_16x16x32_bf16 v[34:37], a[140:143], a[68:71], v[34:37]// 00000000B2C0: D3B50022 1C8A898C
	ds_read_b128 a[112:115], v18 offset:28672                  // 00000000B2C8: DBFE7000 70000012
	ds_read_b128 a[116:119], v18 offset:29696                  // 00000000B2D0: DBFE7400 74000012
	ds_read_b128 a[120:123], v18 offset:30720                  // 00000000B2D8: DBFE7800 78000012
	ds_read_b128 a[124:127], v18 offset:31744                  // 00000000B2E0: DBFE7C00 7C000012
	ds_read_b128 a[128:131], v18 offset:32768                  // 00000000B2E8: DBFE8000 80000012
	ds_read_b128 a[132:135], v18 offset:33792                  // 00000000B2F0: DBFE8400 84000012
	ds_read_b128 a[136:139], v18 offset:34816                  // 00000000B2F8: DBFE8800 88000012
	ds_read_b128 a[140:143], v18 offset:35840                  // 00000000B300: DBFE8C00 8C000012
	s_waitcnt lgkmcnt(0)                                       // 00000000B308: BF8CC07F
	v_mfma_f32_16x16x32_bf16 v[38:41], a[72:75], a[0:3], 0     // 00000000B30C: D3B50026 1A020148
	ds_read_b64_tr_b16 a[144:145], v8                          // 00000000B314: DBC60000 90000008
	ds_read_b64_tr_b16 a[146:147], v8 offset:256               // 00000000B31C: DBC60100 92000008
	ds_read_b64_tr_b16 a[148:149], v9                          // 00000000B324: DBC60000 94000009
	ds_read_b64_tr_b16 a[150:151], v9 offset:256               // 00000000B32C: DBC60100 96000009
	v_mfma_f32_16x16x32_bf16 v[38:41], a[76:79], a[4:7], v[38:41]// 00000000B334: D3B50026 1C9A094C
	ds_read_b64_tr_b16 a[152:153], v8 offset:1024              // 00000000B33C: DBC60400 98000008
	ds_read_b64_tr_b16 a[154:155], v8 offset:1280              // 00000000B344: DBC60500 9A000008
	ds_read_b64_tr_b16 a[156:157], v9 offset:1024              // 00000000B34C: DBC60400 9C000009
	ds_read_b64_tr_b16 a[158:159], v9 offset:1280              // 00000000B354: DBC60500 9E000009
	v_mfma_f32_16x16x32_bf16 v[38:41], a[80:83], a[8:11], v[38:41]// 00000000B35C: D3B50026 1C9A1150
	ds_read_b64_tr_b16 a[160:161], v8 offset:2048              // 00000000B364: DBC60800 A0000008
	ds_read_b64_tr_b16 a[162:163], v8 offset:2304              // 00000000B36C: DBC60900 A2000008
	ds_read_b64_tr_b16 a[164:165], v9 offset:2048              // 00000000B374: DBC60800 A4000009
	ds_read_b64_tr_b16 a[166:167], v9 offset:2304              // 00000000B37C: DBC60900 A6000009
	v_mfma_f32_16x16x32_bf16 v[38:41], a[84:87], a[12:15], v[38:41]// 00000000B384: D3B50026 1C9A1954
	ds_read_b64_tr_b16 a[168:169], v8 offset:3072              // 00000000B38C: DBC60C00 A8000008
	ds_read_b64_tr_b16 a[170:171], v8 offset:3328              // 00000000B394: DBC60D00 AA000008
	ds_read_b64_tr_b16 a[172:173], v9 offset:3072              // 00000000B39C: DBC60C00 AC000009
	ds_read_b64_tr_b16 a[174:175], v9 offset:3328              // 00000000B3A4: DBC60D00 AE000009
	v_mfma_f32_16x16x32_bf16 v[38:41], a[88:91], a[16:19], v[38:41]// 00000000B3AC: D3B50026 1C9A2158
	ds_read_b64_tr_b16 a[176:177], v8 offset:4096              // 00000000B3B4: DBC61000 B0000008
	ds_read_b64_tr_b16 a[178:179], v8 offset:4352              // 00000000B3BC: DBC61100 B2000008
	ds_read_b64_tr_b16 a[180:181], v9 offset:4096              // 00000000B3C4: DBC61000 B4000009
	ds_read_b64_tr_b16 a[182:183], v9 offset:4352              // 00000000B3CC: DBC61100 B6000009
	v_mfma_f32_16x16x32_bf16 v[38:41], a[92:95], a[20:23], v[38:41]// 00000000B3D4: D3B50026 1C9A295C
	ds_read_b64_tr_b16 a[184:185], v8 offset:5120              // 00000000B3DC: DBC61400 B8000008
	ds_read_b64_tr_b16 a[186:187], v8 offset:5376              // 00000000B3E4: DBC61500 BA000008
	ds_read_b64_tr_b16 a[188:189], v9 offset:5120              // 00000000B3EC: DBC61400 BC000009
	ds_read_b64_tr_b16 a[190:191], v9 offset:5376              // 00000000B3F4: DBC61500 BE000009
	v_mfma_f32_16x16x32_bf16 v[38:41], a[96:99], a[24:27], v[38:41]// 00000000B3FC: D3B50026 1C9A3160
	ds_read_b64_tr_b16 a[192:193], v8 offset:6144              // 00000000B404: DBC61800 C0000008
	ds_read_b64_tr_b16 a[194:195], v8 offset:6400              // 00000000B40C: DBC61900 C2000008
	ds_read_b64_tr_b16 a[196:197], v9 offset:6144              // 00000000B414: DBC61800 C4000009
	ds_read_b64_tr_b16 a[198:199], v9 offset:6400              // 00000000B41C: DBC61900 C6000009
	v_mfma_f32_16x16x32_bf16 v[38:41], a[100:103], a[28:31], v[38:41]// 00000000B424: D3B50026 1C9A3964
	ds_read_b64_tr_b16 a[200:201], v8 offset:7168              // 00000000B42C: DBC61C00 C8000008
	ds_read_b64_tr_b16 a[202:203], v8 offset:7424              // 00000000B434: DBC61D00 CA000008
	ds_read_b64_tr_b16 a[204:205], v9 offset:7168              // 00000000B43C: DBC61C00 CC000009
	ds_read_b64_tr_b16 a[206:207], v9 offset:7424              // 00000000B444: DBC61D00 CE000009
	v_mfma_f32_16x16x32_bf16 v[38:41], a[104:107], a[32:35], v[38:41]// 00000000B44C: D3B50026 1C9A4168
	v_mfma_f32_16x16x32_bf16 v[38:41], a[108:111], a[36:39], v[38:41]// 00000000B454: D3B50026 1C9A496C
	v_mfma_f32_16x16x32_bf16 v[38:41], a[112:115], a[40:43], v[38:41]// 00000000B45C: D3B50026 1C9A5170
	v_mfma_f32_16x16x32_bf16 v[38:41], a[116:119], a[44:47], v[38:41]// 00000000B464: D3B50026 1C9A5974
	v_mfma_f32_16x16x32_bf16 v[38:41], a[120:123], a[48:51], v[38:41]// 00000000B46C: D3B50026 1C9A6178
	v_mfma_f32_16x16x32_bf16 v[38:41], a[124:127], a[52:55], v[38:41]// 00000000B474: D3B50026 1C9A697C
	v_mfma_f32_16x16x32_bf16 v[38:41], a[128:131], a[56:59], v[38:41]// 00000000B47C: D3B50026 1C9A7180
	v_mfma_f32_16x16x32_bf16 v[38:41], a[132:135], a[60:63], v[38:41]// 00000000B484: D3B50026 1C9A7984
	v_mfma_f32_16x16x32_bf16 v[38:41], a[136:139], a[64:67], v[38:41]// 00000000B48C: D3B50026 1C9A8188
	v_mfma_f32_16x16x32_bf16 v[38:41], a[140:143], a[68:71], v[38:41]// 00000000B494: D3B50026 1C9A898C
	s_nop 8                                                    // 00000000B49C: BF800008
	s_and_b32 s56, s48, 0xff                                   // 00000000B4A0: 8638FF30 000000FF
	v_mov_b32_e32 v29, s56                                     // 00000000B4A8: 7E3A0238
	v_lshrrev_b32_e32 v18, 4, v0                               // 00000000B4AC: 20240084
	v_mul_i32_i24_e32 v18, 4, v18                              // 00000000B4B0: 0C242484
	v_add_u32_e32 v19, 1, v18                                  // 00000000B4B4: 68262481
	v_add_u32_e32 v20, 2, v18                                  // 00000000B4B8: 68282482
	v_add_u32_e32 v21, 3, v18                                  // 00000000B4BC: 682A2483
	v_mov_b32_e32 v28, 0xff800000                              // 00000000B4C0: 7E3802FF FF800000
	v_cmp_lt_u32_e64 s[36:37], v18, v29                        // 00000000B4C8: D0C90024 00023B12
	v_add_u32_e32 v18, 16, v18                                 // 00000000B4D0: 68242490
	s_nop 0                                                    // 00000000B4D4: BF800000
	v_cndmask_b32_e64 v34, v28, v34, s[36:37]                  // 00000000B4D8: D1000022 0092451C
	v_cmp_lt_u32_e64 s[36:37], v19, v29                        // 00000000B4E0: D0C90024 00023B13
	v_add_u32_e32 v19, 16, v19                                 // 00000000B4E8: 68262690
	s_nop 0                                                    // 00000000B4EC: BF800000
	v_cndmask_b32_e64 v35, v28, v35, s[36:37]                  // 00000000B4F0: D1000023 0092471C
	v_cmp_lt_u32_e64 s[36:37], v20, v29                        // 00000000B4F8: D0C90024 00023B14
	v_add_u32_e32 v20, 16, v20                                 // 00000000B500: 68282890
	s_nop 0                                                    // 00000000B504: BF800000
	v_cndmask_b32_e64 v36, v28, v36, s[36:37]                  // 00000000B508: D1000024 0092491C
	v_cmp_lt_u32_e64 s[36:37], v21, v29                        // 00000000B510: D0C90024 00023B15
	v_add_u32_e32 v21, 16, v21                                 // 00000000B518: 682A2A90
	s_nop 0                                                    // 00000000B51C: BF800000
	v_cndmask_b32_e64 v37, v28, v37, s[36:37]                  // 00000000B520: D1000025 00924B1C
	v_cmp_lt_u32_e64 s[36:37], v18, v29                        // 00000000B528: D0C90024 00023B12
	v_add_u32_e32 v18, 16, v18                                 // 00000000B530: 68242490
	s_nop 0                                                    // 00000000B534: BF800000
	v_cndmask_b32_e64 v38, v28, v38, s[36:37]                  // 00000000B538: D1000026 00924D1C
	v_cmp_lt_u32_e64 s[36:37], v19, v29                        // 00000000B540: D0C90024 00023B13
	v_add_u32_e32 v19, 16, v19                                 // 00000000B548: 68262690
	s_nop 0                                                    // 00000000B54C: BF800000
	v_cndmask_b32_e64 v39, v28, v39, s[36:37]                  // 00000000B550: D1000027 00924F1C
	v_cmp_lt_u32_e64 s[36:37], v20, v29                        // 00000000B558: D0C90024 00023B14
	v_add_u32_e32 v20, 16, v20                                 // 00000000B560: 68282890
	s_nop 0                                                    // 00000000B564: BF800000
	v_cndmask_b32_e64 v40, v28, v40, s[36:37]                  // 00000000B568: D1000028 0092511C
	v_cmp_lt_u32_e64 s[36:37], v21, v29                        // 00000000B570: D0C90024 00023B15
	v_add_u32_e32 v21, 16, v21                                 // 00000000B578: 682A2A90
	s_nop 0                                                    // 00000000B57C: BF800000
	v_cndmask_b32_e64 v41, v28, v41, s[36:37]                  // 00000000B580: D1000029 0092531C
	s_cmp_le_i32 s83, s82                                      // 00000000B588: BF055253
	s_cbranch_scc1 label_9198                                  // 00000000B58C: BF850042
	v_mov_b32_e32 v28, s82                                     // 00000000B590: 7E380252
	s_cmp_eq_i32 s81, 1                                        // 00000000B594: BF008151
	s_cbranch_scc1 label_90B4                                  // 00000000B598: BF850006
	s_cmp_eq_i32 s81, 2                                        // 00000000B59C: BF008251
	s_cbranch_scc1 label_90AC                                  // 00000000B5A0: BF850002
	v_add_u32_e32 v28, s7, v28                                 // 00000000B5A4: 68383807
	s_branch label_90B4                                        // 00000000B5A8: BF820002

000000000000b5ac <label_90AC>:
	s_lshr_b32 s56, s7, 1                                      // 00000000B5AC: 8F388107
	v_add_u32_e32 v28, s56, v28                                // 00000000B5B0: 68383838

000000000000b5b4 <label_90B4>:
	s_sub_u32 s56, s83, 31                                     // 00000000B5B4: 80B89F53
	v_lshrrev_b32_e32 v18, 4, v0                               // 00000000B5B8: 20240084
	v_mul_i32_i24_e32 v18, 4, v18                              // 00000000B5BC: 0C242484
	v_add_u32_e32 v18, s56, v18                                // 00000000B5C0: 68242438
	v_add_u32_e32 v19, 1, v18                                  // 00000000B5C4: 68262481
	v_add_u32_e32 v20, 2, v18                                  // 00000000B5C8: 68282482
	v_add_u32_e32 v21, 3, v18                                  // 00000000B5CC: 682A2483
	v_mov_b32_e32 v29, 0xff800000                              // 00000000B5D0: 7E3A02FF FF800000
	v_cmp_le_u32_e64 s[36:37], v18, v28                        // 00000000B5D8: D0CB0024 00023912
	v_add_u32_e32 v18, 16, v18                                 // 00000000B5E0: 68242490
	s_nop 0                                                    // 00000000B5E4: BF800000
	v_cndmask_b32_e64 v34, v29, v34, s[36:37]                  // 00000000B5E8: D1000022 0092451D
	v_cmp_le_u32_e64 s[36:37], v19, v28                        // 00000000B5F0: D0CB0024 00023913
	v_add_u32_e32 v19, 16, v19                                 // 00000000B5F8: 68262690
	s_nop 0                                                    // 00000000B5FC: BF800000
	v_cndmask_b32_e64 v35, v29, v35, s[36:37]                  // 00000000B600: D1000023 0092471D
	v_cmp_le_u32_e64 s[36:37], v20, v28                        // 00000000B608: D0CB0024 00023914
	v_add_u32_e32 v20, 16, v20                                 // 00000000B610: 68282890
	s_nop 0                                                    // 00000000B614: BF800000
	v_cndmask_b32_e64 v36, v29, v36, s[36:37]                  // 00000000B618: D1000024 0092491D
	v_cmp_le_u32_e64 s[36:37], v21, v28                        // 00000000B620: D0CB0024 00023915
	v_add_u32_e32 v21, 16, v21                                 // 00000000B628: 682A2A90
	s_nop 0                                                    // 00000000B62C: BF800000
	v_cndmask_b32_e64 v37, v29, v37, s[36:37]                  // 00000000B630: D1000025 00924B1D
	v_cmp_le_u32_e64 s[36:37], v18, v28                        // 00000000B638: D0CB0024 00023912
	v_add_u32_e32 v18, 16, v18                                 // 00000000B640: 68242490
	s_nop 0                                                    // 00000000B644: BF800000
	v_cndmask_b32_e64 v38, v29, v38, s[36:37]                  // 00000000B648: D1000026 00924D1D
	v_cmp_le_u32_e64 s[36:37], v19, v28                        // 00000000B650: D0CB0024 00023913
	v_add_u32_e32 v19, 16, v19                                 // 00000000B658: 68262690
	s_nop 0                                                    // 00000000B65C: BF800000
	v_cndmask_b32_e64 v39, v29, v39, s[36:37]                  // 00000000B660: D1000027 00924F1D
	v_cmp_le_u32_e64 s[36:37], v20, v28                        // 00000000B668: D0CB0024 00023914
	v_add_u32_e32 v20, 16, v20                                 // 00000000B670: 68282890
	s_nop 0                                                    // 00000000B674: BF800000
	v_cndmask_b32_e64 v40, v29, v40, s[36:37]                  // 00000000B678: D1000028 0092511D
	v_cmp_le_u32_e64 s[36:37], v21, v28                        // 00000000B680: D0CB0024 00023915
	v_add_u32_e32 v21, 16, v21                                 // 00000000B688: 682A2A90
	s_nop 0                                                    // 00000000B68C: BF800000
	v_cndmask_b32_e64 v41, v29, v41, s[36:37]                  // 00000000B690: D1000029 0092531D

000000000000b698 <label_9198>:
	s_add_u32 s83, s84, s83                                    // 00000000B698: 80535354
	s_nop 2                                                    // 00000000B69C: BF800002
	v_mov_b32_e32 v29, v34                                     // 00000000B6A0: 7E3A0322
	v_max3_f32 v29, v34, v35, v29                              // 00000000B6A4: D1D3001D 04764722
	v_max3_f32 v29, v36, v37, v29                              // 00000000B6AC: D1D3001D 04764B24
	v_max3_f32 v29, v38, v39, v29                              // 00000000B6B4: D1D3001D 04764F26
	v_max3_f32 v29, v40, v41, v29                              // 00000000B6BC: D1D3001D 04765328
	v_mov_b32_e32 v28, v29                                     // 00000000B6C4: 7E38031D
	v_mov_b32_e32 v29, v29                                     // 00000000B6C8: 7E3A031D
	s_nop 1                                                    // 00000000B6CC: BF800001
	v_permlane16_swap_b32_e32 v28, v29                         // 00000000B6D0: 7E38B31D
	v_mov_b32_e32 v31, v28                                     // 00000000B6D4: 7E3E031C
	v_mov_b32_e32 v30, v29                                     // 00000000B6D8: 7E3C031D
	s_nop 1                                                    // 00000000B6DC: BF800001
	v_permlane32_swap_b32_e32 v28, v29                         // 00000000B6E0: 7E38B51D
	v_permlane32_swap_b32_e32 v30, v31                         // 00000000B6E4: 7E3CB51F
	v_max3_f32 v29, v28, v29, v29                              // 00000000B6E8: D1D3001D 04763B1C
	v_max3_f32 v29, v30, v31, v29                              // 00000000B6F0: D1D3001D 04763F1E
	v_mov_b32_e32 v28, 0xff800000                              // 00000000B6F8: 7E3802FF FF800000
	v_cmp_eq_u32_e64 s[36:37], v28, v2                         // 00000000B700: D0CA0024 0002051C
	v_max_f32_e32 v29, v29, v2                                 // 00000000B708: 163A051D
	v_sub_f32_e32 v16, v2, v29                                 // 00000000B70C: 04203B02
	v_cndmask_b32_e64 v16, v16, 0, s[36:37]                    // 00000000B710: D1000010 00910110
	v_mov_b32_e32 v2, v29                                      // 00000000B718: 7E04031D
	v_mul_f32_e32 v29, s5, v29                                 // 00000000B71C: 0A3A3A05
	v_mul_f32_e32 v16, s5, v16                                 // 00000000B720: 0A202005
	v_exp_f32_e32 v16, v16                                     // 00000000B724: 7E204110
	v_fma_f32 v34, v34, s5, -v29                               // 00000000B728: D1CB0022 84740B22
	v_fma_f32 v35, v35, s5, -v29                               // 00000000B730: D1CB0023 84740B23
	v_fma_f32 v36, v36, s5, -v29                               // 00000000B738: D1CB0024 84740B24
	v_fma_f32 v37, v37, s5, -v29                               // 00000000B740: D1CB0025 84740B25
	v_fma_f32 v38, v38, s5, -v29                               // 00000000B748: D1CB0026 84740B26
	v_fma_f32 v39, v39, s5, -v29                               // 00000000B750: D1CB0027 84740B27
	v_fma_f32 v40, v40, s5, -v29                               // 00000000B758: D1CB0028 84740B28
	v_fma_f32 v41, v41, s5, -v29                               // 00000000B760: D1CB0029 84740B29
	v_exp_f32_e32 v34, v34                                     // 00000000B768: 7E444122
	v_exp_f32_e32 v35, v35                                     // 00000000B76C: 7E464123
	v_exp_f32_e32 v36, v36                                     // 00000000B770: 7E484124
	v_exp_f32_e32 v37, v37                                     // 00000000B774: 7E4A4125
	v_exp_f32_e32 v38, v38                                     // 00000000B778: 7E4C4126
	v_exp_f32_e32 v39, v39                                     // 00000000B77C: 7E4E4127
	v_exp_f32_e32 v40, v40                                     // 00000000B780: 7E504128
	v_exp_f32_e32 v41, v41                                     // 00000000B784: 7E524129
	v_mul_f32_e32 v4, v16, v4                                  // 00000000B788: 0A080910
	v_mov_b32_e32 v28, v34                                     // 00000000B78C: 7E380322
	v_add_f32_e32 v28, v35, v28                                // 00000000B790: 02383923
	v_add_f32_e32 v28, v36, v28                                // 00000000B794: 02383924
	v_add_f32_e32 v28, v37, v28                                // 00000000B798: 02383925
	v_add_f32_e32 v28, v38, v28                                // 00000000B79C: 02383926
	v_add_f32_e32 v28, v39, v28                                // 00000000B7A0: 02383927
	v_add_f32_e32 v28, v40, v28                                // 00000000B7A4: 02383928
	v_add_f32_e32 v28, v41, v28                                // 00000000B7A8: 02383929
	v_add_f32_e32 v4, v28, v4                                  // 00000000B7AC: 0208091C
	v_cvt_pk_bf16_f32 v34, v34, v35                            // 00000000B7B0: D2680022 00024722
	v_cvt_pk_bf16_f32 v35, v36, v37                            // 00000000B7B8: D2680023 00024B24
	v_cvt_pk_bf16_f32 v36, v38, v39                            // 00000000B7C0: D2680024 00024F26
	v_cvt_pk_bf16_f32 v37, v40, v41                            // 00000000B7C8: D2680025 00025328
	s_nop 0                                                    // 00000000B7D0: BF800000
	v_permlane32_swap_b32_e32 v34, v36                         // 00000000B7D4: 7E44B524
	v_permlane32_swap_b32_e32 v35, v37                         // 00000000B7D8: 7E46B525
	s_nop 0                                                    // 00000000B7DC: BF800000
	v_permlane16_swap_b32_e32 v34, v36                         // 00000000B7E0: 7E44B324
	v_permlane16_swap_b32_e32 v35, v37                         // 00000000B7E4: 7E46B325
	v_mov_b32_e32 v30, v16                                     // 00000000B7E8: 7E3C0310
	v_mov_b32_e32 v31, v16                                     // 00000000B7EC: 7E3E0310
	v_pk_mul_f32 v[50:51], v[30:31], v[50:51]                  // 00000000B7F0: D3B14032 1802651E
	v_pk_mul_f32 v[52:53], v[30:31], v[52:53]                  // 00000000B7F8: D3B14034 1802691E
	v_pk_mul_f32 v[54:55], v[30:31], v[54:55]                  // 00000000B800: D3B14036 18026D1E
	v_pk_mul_f32 v[56:57], v[30:31], v[56:57]                  // 00000000B808: D3B14038 1802711E
	v_pk_mul_f32 v[58:59], v[30:31], v[58:59]                  // 00000000B810: D3B1403A 1802751E
	v_pk_mul_f32 v[60:61], v[30:31], v[60:61]                  // 00000000B818: D3B1403C 1802791E
	v_pk_mul_f32 v[62:63], v[30:31], v[62:63]                  // 00000000B820: D3B1403E 18027D1E
	v_pk_mul_f32 v[64:65], v[30:31], v[64:65]                  // 00000000B828: D3B14040 1802811E
	v_pk_mul_f32 v[66:67], v[30:31], v[66:67]                  // 00000000B830: D3B14042 1802851E
	v_pk_mul_f32 v[68:69], v[30:31], v[68:69]                  // 00000000B838: D3B14044 1802891E
	v_pk_mul_f32 v[70:71], v[30:31], v[70:71]                  // 00000000B840: D3B14046 18028D1E
	v_pk_mul_f32 v[72:73], v[30:31], v[72:73]                  // 00000000B848: D3B14048 1802911E
	v_pk_mul_f32 v[74:75], v[30:31], v[74:75]                  // 00000000B850: D3B1404A 1802951E
	v_pk_mul_f32 v[76:77], v[30:31], v[76:77]                  // 00000000B858: D3B1404C 1802991E
	v_pk_mul_f32 v[78:79], v[30:31], v[78:79]                  // 00000000B860: D3B1404E 18029D1E
	v_pk_mul_f32 v[80:81], v[30:31], v[80:81]                  // 00000000B868: D3B14050 1802A11E
	v_pk_mul_f32 v[82:83], v[30:31], v[82:83]                  // 00000000B870: D3B14052 1802A51E
	v_pk_mul_f32 v[84:85], v[30:31], v[84:85]                  // 00000000B878: D3B14054 1802A91E
	v_pk_mul_f32 v[86:87], v[30:31], v[86:87]                  // 00000000B880: D3B14056 1802AD1E
	v_pk_mul_f32 v[88:89], v[30:31], v[88:89]                  // 00000000B888: D3B14058 1802B11E
	v_pk_mul_f32 v[90:91], v[30:31], v[90:91]                  // 00000000B890: D3B1405A 1802B51E
	v_pk_mul_f32 v[92:93], v[30:31], v[92:93]                  // 00000000B898: D3B1405C 1802B91E
	v_pk_mul_f32 v[94:95], v[30:31], v[94:95]                  // 00000000B8A0: D3B1405E 1802BD1E
	v_pk_mul_f32 v[96:97], v[30:31], v[96:97]                  // 00000000B8A8: D3B14060 1802C11E
	v_pk_mul_f32 v[98:99], v[30:31], v[98:99]                  // 00000000B8B0: D3B14062 1802C51E
	v_pk_mul_f32 v[100:101], v[30:31], v[100:101]              // 00000000B8B8: D3B14064 1802C91E
	v_pk_mul_f32 v[102:103], v[30:31], v[102:103]              // 00000000B8C0: D3B14066 1802CD1E
	v_pk_mul_f32 v[104:105], v[30:31], v[104:105]              // 00000000B8C8: D3B14068 1802D11E
	v_pk_mul_f32 v[106:107], v[30:31], v[106:107]              // 00000000B8D0: D3B1406A 1802D51E
	v_pk_mul_f32 v[108:109], v[30:31], v[108:109]              // 00000000B8D8: D3B1406C 1802D91E
	v_pk_mul_f32 v[110:111], v[30:31], v[110:111]              // 00000000B8E0: D3B1406E 1802DD1E
	v_pk_mul_f32 v[112:113], v[30:31], v[112:113]              // 00000000B8E8: D3B14070 1802E11E
	v_pk_mul_f32 v[114:115], v[30:31], v[114:115]              // 00000000B8F0: D3B14072 1802E51E
	v_pk_mul_f32 v[116:117], v[30:31], v[116:117]              // 00000000B8F8: D3B14074 1802E91E
	v_pk_mul_f32 v[118:119], v[30:31], v[118:119]              // 00000000B900: D3B14076 1802ED1E
	v_pk_mul_f32 v[120:121], v[30:31], v[120:121]              // 00000000B908: D3B14078 1802F11E
	v_pk_mul_f32 v[122:123], v[30:31], v[122:123]              // 00000000B910: D3B1407A 1802F51E
	v_pk_mul_f32 v[124:125], v[30:31], v[124:125]              // 00000000B918: D3B1407C 1802F91E
	v_pk_mul_f32 v[126:127], v[30:31], v[126:127]              // 00000000B920: D3B1407E 1802FD1E
	v_pk_mul_f32 v[128:129], v[30:31], v[128:129]              // 00000000B928: D3B14080 1803011E
	v_pk_mul_f32 v[130:131], v[30:31], v[130:131]              // 00000000B930: D3B14082 1803051E
	v_pk_mul_f32 v[132:133], v[30:31], v[132:133]              // 00000000B938: D3B14084 1803091E
	v_pk_mul_f32 v[134:135], v[30:31], v[134:135]              // 00000000B940: D3B14086 18030D1E
	v_pk_mul_f32 v[136:137], v[30:31], v[136:137]              // 00000000B948: D3B14088 1803111E
	v_pk_mul_f32 v[138:139], v[30:31], v[138:139]              // 00000000B950: D3B1408A 1803151E
	v_pk_mul_f32 v[140:141], v[30:31], v[140:141]              // 00000000B958: D3B1408C 1803191E
	v_pk_mul_f32 v[142:143], v[30:31], v[142:143]              // 00000000B960: D3B1408E 18031D1E
	v_pk_mul_f32 v[144:145], v[30:31], v[144:145]              // 00000000B968: D3B14090 1803211E
	v_pk_mul_f32 v[146:147], v[30:31], v[146:147]              // 00000000B970: D3B14092 1803251E
	v_pk_mul_f32 v[148:149], v[30:31], v[148:149]              // 00000000B978: D3B14094 1803291E
	v_pk_mul_f32 v[150:151], v[30:31], v[150:151]              // 00000000B980: D3B14096 18032D1E
	v_pk_mul_f32 v[152:153], v[30:31], v[152:153]              // 00000000B988: D3B14098 1803311E
	v_pk_mul_f32 v[154:155], v[30:31], v[154:155]              // 00000000B990: D3B1409A 1803351E
	v_pk_mul_f32 v[156:157], v[30:31], v[156:157]              // 00000000B998: D3B1409C 1803391E
	v_pk_mul_f32 v[158:159], v[30:31], v[158:159]              // 00000000B9A0: D3B1409E 18033D1E
	v_pk_mul_f32 v[160:161], v[30:31], v[160:161]              // 00000000B9A8: D3B140A0 1803411E
	v_pk_mul_f32 v[162:163], v[30:31], v[162:163]              // 00000000B9B0: D3B140A2 1803451E
	v_pk_mul_f32 v[164:165], v[30:31], v[164:165]              // 00000000B9B8: D3B140A4 1803491E
	v_pk_mul_f32 v[166:167], v[30:31], v[166:167]              // 00000000B9C0: D3B140A6 18034D1E
	v_pk_mul_f32 v[168:169], v[30:31], v[168:169]              // 00000000B9C8: D3B140A8 1803511E
	v_pk_mul_f32 v[170:171], v[30:31], v[170:171]              // 00000000B9D0: D3B140AA 1803551E
	v_pk_mul_f32 v[172:173], v[30:31], v[172:173]              // 00000000B9D8: D3B140AC 1803591E
	v_pk_mul_f32 v[174:175], v[30:31], v[174:175]              // 00000000B9E0: D3B140AE 18035D1E
	v_pk_mul_f32 v[176:177], v[30:31], v[176:177]              // 00000000B9E8: D3B140B0 1803611E
	s_waitcnt lgkmcnt(0)                                       // 00000000B9F0: BF8CC07F
	v_mfma_f32_16x16x32_bf16 v[50:53], a[144:147], v[34:37], v[50:53]// 00000000B9F4: D3B50032 0CCA4590
	v_mfma_f32_16x16x32_bf16 v[54:57], a[148:151], v[34:37], v[54:57]// 00000000B9FC: D3B50036 0CDA4594
	v_mfma_f32_16x16x32_bf16 v[58:61], a[152:155], v[34:37], v[58:61]// 00000000BA04: D3B5003A 0CEA4598
	v_mfma_f32_16x16x32_bf16 v[62:65], a[156:159], v[34:37], v[62:65]// 00000000BA0C: D3B5003E 0CFA459C
	v_mfma_f32_16x16x32_bf16 v[66:69], a[160:163], v[34:37], v[66:69]// 00000000BA14: D3B50042 0D0A45A0
	v_mfma_f32_16x16x32_bf16 v[70:73], a[164:167], v[34:37], v[70:73]// 00000000BA1C: D3B50046 0D1A45A4
	v_mfma_f32_16x16x32_bf16 v[74:77], a[168:171], v[34:37], v[74:77]// 00000000BA24: D3B5004A 0D2A45A8
	v_mfma_f32_16x16x32_bf16 v[78:81], a[172:175], v[34:37], v[78:81]// 00000000BA2C: D3B5004E 0D3A45AC
	v_mfma_f32_16x16x32_bf16 v[82:85], a[176:179], v[34:37], v[82:85]// 00000000BA34: D3B50052 0D4A45B0
	v_mfma_f32_16x16x32_bf16 v[86:89], a[180:183], v[34:37], v[86:89]// 00000000BA3C: D3B50056 0D5A45B4
	v_mfma_f32_16x16x32_bf16 v[90:93], a[184:187], v[34:37], v[90:93]// 00000000BA44: D3B5005A 0D6A45B8
	ds_read_b64_tr_b16 a[144:145], v8 offset:8192              // 00000000BA4C: DBC62000 90000008
	ds_read_b64_tr_b16 a[146:147], v8 offset:8448              // 00000000BA54: DBC62100 92000008
	ds_read_b64_tr_b16 a[148:149], v9 offset:8192              // 00000000BA5C: DBC62000 94000009
	ds_read_b64_tr_b16 a[150:151], v9 offset:8448              // 00000000BA64: DBC62100 96000009
	v_mfma_f32_16x16x32_bf16 v[94:97], a[188:191], v[34:37], v[94:97]// 00000000BA6C: D3B5005E 0D7A45BC
	ds_read_b64_tr_b16 a[152:153], v8 offset:9216              // 00000000BA74: DBC62400 98000008
	ds_read_b64_tr_b16 a[154:155], v8 offset:9472              // 00000000BA7C: DBC62500 9A000008
	ds_read_b64_tr_b16 a[156:157], v9 offset:9216              // 00000000BA84: DBC62400 9C000009
	ds_read_b64_tr_b16 a[158:159], v9 offset:9472              // 00000000BA8C: DBC62500 9E000009
	v_mfma_f32_16x16x32_bf16 v[98:101], a[192:195], v[34:37], v[98:101]// 00000000BA94: D3B50062 0D8A45C0
	ds_read_b64_tr_b16 a[160:161], v8 offset:10240             // 00000000BA9C: DBC62800 A0000008
	ds_read_b64_tr_b16 a[162:163], v8 offset:10496             // 00000000BAA4: DBC62900 A2000008
	ds_read_b64_tr_b16 a[164:165], v9 offset:10240             // 00000000BAAC: DBC62800 A4000009
	ds_read_b64_tr_b16 a[166:167], v9 offset:10496             // 00000000BAB4: DBC62900 A6000009
	v_mfma_f32_16x16x32_bf16 v[102:105], a[196:199], v[34:37], v[102:105]// 00000000BABC: D3B50066 0D9A45C4
	ds_read_b64_tr_b16 a[168:169], v8 offset:11264             // 00000000BAC4: DBC62C00 A8000008
	ds_read_b64_tr_b16 a[170:171], v8 offset:11520             // 00000000BACC: DBC62D00 AA000008
	ds_read_b64_tr_b16 a[172:173], v9 offset:11264             // 00000000BAD4: DBC62C00 AC000009
	ds_read_b64_tr_b16 a[174:175], v9 offset:11520             // 00000000BADC: DBC62D00 AE000009
	v_mfma_f32_16x16x32_bf16 v[106:109], a[200:203], v[34:37], v[106:109]// 00000000BAE4: D3B5006A 0DAA45C8
	ds_read_b64_tr_b16 a[176:177], v8 offset:12288             // 00000000BAEC: DBC63000 B0000008
	ds_read_b64_tr_b16 a[178:179], v8 offset:12544             // 00000000BAF4: DBC63100 B2000008
	ds_read_b64_tr_b16 a[180:181], v9 offset:12288             // 00000000BAFC: DBC63000 B4000009
	ds_read_b64_tr_b16 a[182:183], v9 offset:12544             // 00000000BB04: DBC63100 B6000009
	v_mfma_f32_16x16x32_bf16 v[110:113], a[204:207], v[34:37], v[110:113]// 00000000BB0C: D3B5006E 0DBA45CC
	ds_read_b64_tr_b16 a[184:185], v8 offset:13312             // 00000000BB14: DBC63400 B8000008
	ds_read_b64_tr_b16 a[186:187], v8 offset:13568             // 00000000BB1C: DBC63500 BA000008
	ds_read_b64_tr_b16 a[188:189], v9 offset:13312             // 00000000BB24: DBC63400 BC000009
	ds_read_b64_tr_b16 a[190:191], v9 offset:13568             // 00000000BB2C: DBC63500 BE000009
	ds_read_b64_tr_b16 a[192:193], v8 offset:14336             // 00000000BB34: DBC63800 C0000008
	ds_read_b64_tr_b16 a[194:195], v8 offset:14592             // 00000000BB3C: DBC63900 C2000008
	ds_read_b64_tr_b16 a[196:197], v9 offset:14336             // 00000000BB44: DBC63800 C4000009
	ds_read_b64_tr_b16 a[198:199], v9 offset:14592             // 00000000BB4C: DBC63900 C6000009
	ds_read_b64_tr_b16 a[200:201], v8 offset:15360             // 00000000BB54: DBC63C00 C8000008
	ds_read_b64_tr_b16 a[202:203], v8 offset:15616             // 00000000BB5C: DBC63D00 CA000008
	ds_read_b64_tr_b16 a[204:205], v9 offset:15360             // 00000000BB64: DBC63C00 CC000009
	ds_read_b64_tr_b16 a[206:207], v9 offset:15616             // 00000000BB6C: DBC63D00 CE000009
	s_waitcnt lgkmcnt(0)                                       // 00000000BB74: BF8CC07F
	v_mfma_f32_16x16x32_bf16 v[114:117], a[144:147], v[34:37], v[114:117]// 00000000BB78: D3B50072 0DCA4590
	v_mfma_f32_16x16x32_bf16 v[118:121], a[148:151], v[34:37], v[118:121]// 00000000BB80: D3B50076 0DDA4594
	v_mfma_f32_16x16x32_bf16 v[122:125], a[152:155], v[34:37], v[122:125]// 00000000BB88: D3B5007A 0DEA4598
	v_mfma_f32_16x16x32_bf16 v[126:129], a[156:159], v[34:37], v[126:129]// 00000000BB90: D3B5007E 0DFA459C
	v_mfma_f32_16x16x32_bf16 v[130:133], a[160:163], v[34:37], v[130:133]// 00000000BB98: D3B50082 0E0A45A0
	v_mfma_f32_16x16x32_bf16 v[134:137], a[164:167], v[34:37], v[134:137]// 00000000BBA0: D3B50086 0E1A45A4
	v_mfma_f32_16x16x32_bf16 v[138:141], a[168:171], v[34:37], v[138:141]// 00000000BBA8: D3B5008A 0E2A45A8
	v_mfma_f32_16x16x32_bf16 v[142:145], a[172:175], v[34:37], v[142:145]// 00000000BBB0: D3B5008E 0E3A45AC
	v_mfma_f32_16x16x32_bf16 v[146:149], a[176:179], v[34:37], v[146:149]// 00000000BBB8: D3B50092 0E4A45B0
	v_mfma_f32_16x16x32_bf16 v[150:153], a[180:183], v[34:37], v[150:153]// 00000000BBC0: D3B50096 0E5A45B4
	v_mfma_f32_16x16x32_bf16 v[154:157], a[184:187], v[34:37], v[154:157]// 00000000BBC8: D3B5009A 0E6A45B8
	v_mfma_f32_16x16x32_bf16 v[158:161], a[188:191], v[34:37], v[158:161]// 00000000BBD0: D3B5009E 0E7A45BC
	v_mfma_f32_16x16x32_bf16 v[162:165], a[192:195], v[34:37], v[162:165]// 00000000BBD8: D3B500A2 0E8A45C0
	v_mfma_f32_16x16x32_bf16 v[166:169], a[196:199], v[34:37], v[166:169]// 00000000BBE0: D3B500A6 0E9A45C4
	v_mfma_f32_16x16x32_bf16 v[170:173], a[200:203], v[34:37], v[170:173]// 00000000BBE8: D3B500AA 0EAA45C8
	v_mfma_f32_16x16x32_bf16 v[174:177], a[204:207], v[34:37], v[174:177]// 00000000BBF0: D3B500AE 0EBA45CC
	s_nop 8                                                    // 00000000BBF8: BF800008
	s_branch label_B75C                                        // 00000000BBFC: BF820795

000000000000bc00 <label_9700>:
	s_waitcnt lgkmcnt(0)                                       // 00000000BC00: BF8CC07F
	v_mfma_f32_16x16x32_bf16 v[42:45], a[72:75], a[0:3], 0     // 00000000BC04: D3B5002A 1A020148
	v_mfma_f32_16x16x32_bf16 v[42:45], a[76:79], a[4:7], v[42:45]// 00000000BC0C: D3B5002A 1CAA094C
	v_mfma_f32_16x16x32_bf16 v[42:45], a[80:83], a[8:11], v[42:45]// 00000000BC14: D3B5002A 1CAA1150
	v_mfma_f32_16x16x32_bf16 v[42:45], a[84:87], a[12:15], v[42:45]// 00000000BC1C: D3B5002A 1CAA1954
	v_mfma_f32_16x16x32_bf16 v[42:45], a[88:91], a[16:19], v[42:45]// 00000000BC24: D3B5002A 1CAA2158
	v_mfma_f32_16x16x32_bf16 v[42:45], a[92:95], a[20:23], v[42:45]// 00000000BC2C: D3B5002A 1CAA295C
	v_mfma_f32_16x16x32_bf16 v[42:45], a[96:99], a[24:27], v[42:45]// 00000000BC34: D3B5002A 1CAA3160
	v_mfma_f32_16x16x32_bf16 v[42:45], a[100:103], a[28:31], v[42:45]// 00000000BC3C: D3B5002A 1CAA3964
	ds_read_b128 a[72:75], v19 offset:18432                    // 00000000BC44: DBFE4800 48000013
	ds_read_b128 a[76:79], v19 offset:19456                    // 00000000BC4C: DBFE4C00 4C000013
	v_mfma_f32_16x16x32_bf16 v[42:45], a[104:107], a[32:35], v[42:45]// 00000000BC54: D3B5002A 1CAA4168
	v_mfma_f32_16x16x32_bf16 v[42:45], a[108:111], a[36:39], v[42:45]// 00000000BC5C: D3B5002A 1CAA496C
	ds_read_b128 a[80:83], v19 offset:20480                    // 00000000BC64: DBFE5000 50000013
	ds_read_b128 a[84:87], v19 offset:21504                    // 00000000BC6C: DBFE5400 54000013
	v_mfma_f32_16x16x32_bf16 v[42:45], a[112:115], a[40:43], v[42:45]// 00000000BC74: D3B5002A 1CAA5170
	v_mfma_f32_16x16x32_bf16 v[42:45], a[116:119], a[44:47], v[42:45]// 00000000BC7C: D3B5002A 1CAA5974
	ds_read_b128 a[88:91], v19 offset:22528                    // 00000000BC84: DBFE5800 58000013
	ds_read_b128 a[92:95], v19 offset:23552                    // 00000000BC8C: DBFE5C00 5C000013
	v_mfma_f32_16x16x32_bf16 v[42:45], a[120:123], a[48:51], v[42:45]// 00000000BC94: D3B5002A 1CAA6178
	v_mfma_f32_16x16x32_bf16 v[42:45], a[124:127], a[52:55], v[42:45]// 00000000BC9C: D3B5002A 1CAA697C
	ds_read_b128 a[96:99], v19 offset:24576                    // 00000000BCA4: DBFE6000 60000013
	ds_read_b128 a[100:103], v19 offset:25600                  // 00000000BCAC: DBFE6400 64000013
	v_mfma_f32_16x16x32_bf16 v[42:45], a[128:131], a[56:59], v[42:45]// 00000000BCB4: D3B5002A 1CAA7180
	v_mfma_f32_16x16x32_bf16 v[42:45], a[132:135], a[60:63], v[42:45]// 00000000BCBC: D3B5002A 1CAA7984
	ds_read_b128 a[104:107], v19 offset:26624                  // 00000000BCC4: DBFE6800 68000013
	ds_read_b128 a[108:111], v19 offset:27648                  // 00000000BCCC: DBFE6C00 6C000013
	v_mfma_f32_16x16x32_bf16 v[42:45], a[136:139], a[64:67], v[42:45]// 00000000BCD4: D3B5002A 1CAA8188
	v_mfma_f32_16x16x32_bf16 v[42:45], a[140:143], a[68:71], v[42:45]// 00000000BCDC: D3B5002A 1CAA898C
	ds_read_b128 a[112:115], v19 offset:28672                  // 00000000BCE4: DBFE7000 70000013
	ds_read_b128 a[116:119], v19 offset:29696                  // 00000000BCEC: DBFE7400 74000013
	ds_read_b128 a[120:123], v19 offset:30720                  // 00000000BCF4: DBFE7800 78000013
	ds_read_b128 a[124:127], v19 offset:31744                  // 00000000BCFC: DBFE7C00 7C000013
	ds_read_b128 a[128:131], v19 offset:32768                  // 00000000BD04: DBFE8000 80000013
	ds_read_b128 a[132:135], v19 offset:33792                  // 00000000BD0C: DBFE8400 84000013
	ds_read_b128 a[136:139], v19 offset:34816                  // 00000000BD14: DBFE8800 88000013
	ds_read_b128 a[140:143], v19 offset:35840                  // 00000000BD1C: DBFE8C00 8C000013
	s_waitcnt lgkmcnt(0)                                       // 00000000BD24: BF8CC07F
	v_mfma_f32_16x16x32_bf16 v[46:49], a[72:75], a[0:3], 0     // 00000000BD28: D3B5002E 1A020148
	ds_read_b64_tr_b16 a[144:145], v10                         // 00000000BD30: DBC60000 9000000A
	ds_read_b64_tr_b16 a[146:147], v10 offset:256              // 00000000BD38: DBC60100 9200000A
	ds_read_b64_tr_b16 a[148:149], v11                         // 00000000BD40: DBC60000 9400000B
	ds_read_b64_tr_b16 a[150:151], v11 offset:256              // 00000000BD48: DBC60100 9600000B
	v_mfma_f32_16x16x32_bf16 v[46:49], a[76:79], a[4:7], v[46:49]// 00000000BD50: D3B5002E 1CBA094C
	ds_read_b64_tr_b16 a[152:153], v10 offset:1024             // 00000000BD58: DBC60400 9800000A
	ds_read_b64_tr_b16 a[154:155], v10 offset:1280             // 00000000BD60: DBC60500 9A00000A
	ds_read_b64_tr_b16 a[156:157], v11 offset:1024             // 00000000BD68: DBC60400 9C00000B
	ds_read_b64_tr_b16 a[158:159], v11 offset:1280             // 00000000BD70: DBC60500 9E00000B
	v_mfma_f32_16x16x32_bf16 v[46:49], a[80:83], a[8:11], v[46:49]// 00000000BD78: D3B5002E 1CBA1150
	ds_read_b64_tr_b16 a[160:161], v10 offset:2048             // 00000000BD80: DBC60800 A000000A
	ds_read_b64_tr_b16 a[162:163], v10 offset:2304             // 00000000BD88: DBC60900 A200000A
	ds_read_b64_tr_b16 a[164:165], v11 offset:2048             // 00000000BD90: DBC60800 A400000B
	ds_read_b64_tr_b16 a[166:167], v11 offset:2304             // 00000000BD98: DBC60900 A600000B
	v_mfma_f32_16x16x32_bf16 v[46:49], a[84:87], a[12:15], v[46:49]// 00000000BDA0: D3B5002E 1CBA1954
	ds_read_b64_tr_b16 a[168:169], v10 offset:3072             // 00000000BDA8: DBC60C00 A800000A
	ds_read_b64_tr_b16 a[170:171], v10 offset:3328             // 00000000BDB0: DBC60D00 AA00000A
	ds_read_b64_tr_b16 a[172:173], v11 offset:3072             // 00000000BDB8: DBC60C00 AC00000B
	ds_read_b64_tr_b16 a[174:175], v11 offset:3328             // 00000000BDC0: DBC60D00 AE00000B
	v_mfma_f32_16x16x32_bf16 v[46:49], a[88:91], a[16:19], v[46:49]// 00000000BDC8: D3B5002E 1CBA2158
	ds_read_b64_tr_b16 a[176:177], v10 offset:4096             // 00000000BDD0: DBC61000 B000000A
	ds_read_b64_tr_b16 a[178:179], v10 offset:4352             // 00000000BDD8: DBC61100 B200000A
	ds_read_b64_tr_b16 a[180:181], v11 offset:4096             // 00000000BDE0: DBC61000 B400000B
	ds_read_b64_tr_b16 a[182:183], v11 offset:4352             // 00000000BDE8: DBC61100 B600000B
	v_mfma_f32_16x16x32_bf16 v[46:49], a[92:95], a[20:23], v[46:49]// 00000000BDF0: D3B5002E 1CBA295C
	ds_read_b64_tr_b16 a[184:185], v10 offset:5120             // 00000000BDF8: DBC61400 B800000A
	ds_read_b64_tr_b16 a[186:187], v10 offset:5376             // 00000000BE00: DBC61500 BA00000A
	ds_read_b64_tr_b16 a[188:189], v11 offset:5120             // 00000000BE08: DBC61400 BC00000B
	ds_read_b64_tr_b16 a[190:191], v11 offset:5376             // 00000000BE10: DBC61500 BE00000B
	v_mfma_f32_16x16x32_bf16 v[46:49], a[96:99], a[24:27], v[46:49]// 00000000BE18: D3B5002E 1CBA3160
	ds_read_b64_tr_b16 a[192:193], v10 offset:6144             // 00000000BE20: DBC61800 C000000A
	ds_read_b64_tr_b16 a[194:195], v10 offset:6400             // 00000000BE28: DBC61900 C200000A
	ds_read_b64_tr_b16 a[196:197], v11 offset:6144             // 00000000BE30: DBC61800 C400000B
	ds_read_b64_tr_b16 a[198:199], v11 offset:6400             // 00000000BE38: DBC61900 C600000B
	v_mfma_f32_16x16x32_bf16 v[46:49], a[100:103], a[28:31], v[46:49]// 00000000BE40: D3B5002E 1CBA3964
	ds_read_b64_tr_b16 a[200:201], v10 offset:7168             // 00000000BE48: DBC61C00 C800000A
	ds_read_b64_tr_b16 a[202:203], v10 offset:7424             // 00000000BE50: DBC61D00 CA00000A
	ds_read_b64_tr_b16 a[204:205], v11 offset:7168             // 00000000BE58: DBC61C00 CC00000B
	ds_read_b64_tr_b16 a[206:207], v11 offset:7424             // 00000000BE60: DBC61D00 CE00000B
	v_mfma_f32_16x16x32_bf16 v[46:49], a[104:107], a[32:35], v[46:49]// 00000000BE68: D3B5002E 1CBA4168
	v_mfma_f32_16x16x32_bf16 v[46:49], a[108:111], a[36:39], v[46:49]// 00000000BE70: D3B5002E 1CBA496C
	v_mfma_f32_16x16x32_bf16 v[46:49], a[112:115], a[40:43], v[46:49]// 00000000BE78: D3B5002E 1CBA5170
	v_mfma_f32_16x16x32_bf16 v[46:49], a[116:119], a[44:47], v[46:49]// 00000000BE80: D3B5002E 1CBA5974
	v_mfma_f32_16x16x32_bf16 v[46:49], a[120:123], a[48:51], v[46:49]// 00000000BE88: D3B5002E 1CBA6178
	v_mfma_f32_16x16x32_bf16 v[46:49], a[124:127], a[52:55], v[46:49]// 00000000BE90: D3B5002E 1CBA697C
	v_mfma_f32_16x16x32_bf16 v[46:49], a[128:131], a[56:59], v[46:49]// 00000000BE98: D3B5002E 1CBA7180
	v_mfma_f32_16x16x32_bf16 v[46:49], a[132:135], a[60:63], v[46:49]// 00000000BEA0: D3B5002E 1CBA7984
	v_mfma_f32_16x16x32_bf16 v[46:49], a[136:139], a[64:67], v[46:49]// 00000000BEA8: D3B5002E 1CBA8188
	v_mfma_f32_16x16x32_bf16 v[46:49], a[140:143], a[68:71], v[46:49]// 00000000BEB0: D3B5002E 1CBA898C
	s_nop 8                                                    // 00000000BEB8: BF800008
	s_and_b32 s56, s48, 0xff                                   // 00000000BEBC: 8638FF30 000000FF
	v_mov_b32_e32 v29, s56                                     // 00000000BEC4: 7E3A0238
	v_lshrrev_b32_e32 v18, 4, v0                               // 00000000BEC8: 20240084
	v_mul_i32_i24_e32 v18, 4, v18                              // 00000000BECC: 0C242484
	v_add_u32_e32 v19, 1, v18                                  // 00000000BED0: 68262481
	v_add_u32_e32 v20, 2, v18                                  // 00000000BED4: 68282482
	v_add_u32_e32 v21, 3, v18                                  // 00000000BED8: 682A2483
	v_mov_b32_e32 v28, 0xff800000                              // 00000000BEDC: 7E3802FF FF800000
	v_cmp_lt_u32_e64 s[36:37], v18, v29                        // 00000000BEE4: D0C90024 00023B12
	v_add_u32_e32 v18, 16, v18                                 // 00000000BEEC: 68242490
	s_nop 0                                                    // 00000000BEF0: BF800000
	v_cndmask_b32_e64 v42, v28, v42, s[36:37]                  // 00000000BEF4: D100002A 0092551C
	v_cmp_lt_u32_e64 s[36:37], v19, v29                        // 00000000BEFC: D0C90024 00023B13
	v_add_u32_e32 v19, 16, v19                                 // 00000000BF04: 68262690
	s_nop 0                                                    // 00000000BF08: BF800000
	v_cndmask_b32_e64 v43, v28, v43, s[36:37]                  // 00000000BF0C: D100002B 0092571C
	v_cmp_lt_u32_e64 s[36:37], v20, v29                        // 00000000BF14: D0C90024 00023B14
	v_add_u32_e32 v20, 16, v20                                 // 00000000BF1C: 68282890
	s_nop 0                                                    // 00000000BF20: BF800000
	v_cndmask_b32_e64 v44, v28, v44, s[36:37]                  // 00000000BF24: D100002C 0092591C
	v_cmp_lt_u32_e64 s[36:37], v21, v29                        // 00000000BF2C: D0C90024 00023B15
	v_add_u32_e32 v21, 16, v21                                 // 00000000BF34: 682A2A90
	s_nop 0                                                    // 00000000BF38: BF800000
	v_cndmask_b32_e64 v45, v28, v45, s[36:37]                  // 00000000BF3C: D100002D 00925B1C
	v_cmp_lt_u32_e64 s[36:37], v18, v29                        // 00000000BF44: D0C90024 00023B12
	v_add_u32_e32 v18, 16, v18                                 // 00000000BF4C: 68242490
	s_nop 0                                                    // 00000000BF50: BF800000
	v_cndmask_b32_e64 v46, v28, v46, s[36:37]                  // 00000000BF54: D100002E 00925D1C
	v_cmp_lt_u32_e64 s[36:37], v19, v29                        // 00000000BF5C: D0C90024 00023B13
	v_add_u32_e32 v19, 16, v19                                 // 00000000BF64: 68262690
	s_nop 0                                                    // 00000000BF68: BF800000
	v_cndmask_b32_e64 v47, v28, v47, s[36:37]                  // 00000000BF6C: D100002F 00925F1C
	v_cmp_lt_u32_e64 s[36:37], v20, v29                        // 00000000BF74: D0C90024 00023B14
	v_add_u32_e32 v20, 16, v20                                 // 00000000BF7C: 68282890
	s_nop 0                                                    // 00000000BF80: BF800000
	v_cndmask_b32_e64 v48, v28, v48, s[36:37]                  // 00000000BF84: D1000030 0092611C
	v_cmp_lt_u32_e64 s[36:37], v21, v29                        // 00000000BF8C: D0C90024 00023B15
	v_add_u32_e32 v21, 16, v21                                 // 00000000BF94: 682A2A90
	s_nop 0                                                    // 00000000BF98: BF800000
	v_cndmask_b32_e64 v49, v28, v49, s[36:37]                  // 00000000BF9C: D1000031 0092631C
	s_cmp_le_i32 s83, s82                                      // 00000000BFA4: BF055253
	s_cbranch_scc1 label_9BB4                                  // 00000000BFA8: BF850042
	v_mov_b32_e32 v28, s82                                     // 00000000BFAC: 7E380252
	s_cmp_eq_i32 s81, 1                                        // 00000000BFB0: BF008151
	s_cbranch_scc1 label_9AD0                                  // 00000000BFB4: BF850006
	s_cmp_eq_i32 s81, 2                                        // 00000000BFB8: BF008251
	s_cbranch_scc1 label_9AC8                                  // 00000000BFBC: BF850002
	v_add_u32_e32 v28, s7, v28                                 // 00000000BFC0: 68383807
	s_branch label_9AD0                                        // 00000000BFC4: BF820002

000000000000bfc8 <label_9AC8>:
	s_lshr_b32 s56, s7, 1                                      // 00000000BFC8: 8F388107
	v_add_u32_e32 v28, s56, v28                                // 00000000BFCC: 68383838

000000000000bfd0 <label_9AD0>:
	s_sub_u32 s56, s83, 31                                     // 00000000BFD0: 80B89F53
	v_lshrrev_b32_e32 v18, 4, v0                               // 00000000BFD4: 20240084
	v_mul_i32_i24_e32 v18, 4, v18                              // 00000000BFD8: 0C242484
	v_add_u32_e32 v18, s56, v18                                // 00000000BFDC: 68242438
	v_add_u32_e32 v19, 1, v18                                  // 00000000BFE0: 68262481
	v_add_u32_e32 v20, 2, v18                                  // 00000000BFE4: 68282482
	v_add_u32_e32 v21, 3, v18                                  // 00000000BFE8: 682A2483
	v_mov_b32_e32 v29, 0xff800000                              // 00000000BFEC: 7E3A02FF FF800000
	v_cmp_le_u32_e64 s[36:37], v18, v28                        // 00000000BFF4: D0CB0024 00023912
	v_add_u32_e32 v18, 16, v18                                 // 00000000BFFC: 68242490
	s_nop 0                                                    // 00000000C000: BF800000
	v_cndmask_b32_e64 v42, v29, v42, s[36:37]                  // 00000000C004: D100002A 0092551D
	v_cmp_le_u32_e64 s[36:37], v19, v28                        // 00000000C00C: D0CB0024 00023913
	v_add_u32_e32 v19, 16, v19                                 // 00000000C014: 68262690
	s_nop 0                                                    // 00000000C018: BF800000
	v_cndmask_b32_e64 v43, v29, v43, s[36:37]                  // 00000000C01C: D100002B 0092571D
	v_cmp_le_u32_e64 s[36:37], v20, v28                        // 00000000C024: D0CB0024 00023914
	v_add_u32_e32 v20, 16, v20                                 // 00000000C02C: 68282890
	s_nop 0                                                    // 00000000C030: BF800000
	v_cndmask_b32_e64 v44, v29, v44, s[36:37]                  // 00000000C034: D100002C 0092591D
	v_cmp_le_u32_e64 s[36:37], v21, v28                        // 00000000C03C: D0CB0024 00023915
	v_add_u32_e32 v21, 16, v21                                 // 00000000C044: 682A2A90
	s_nop 0                                                    // 00000000C048: BF800000
	v_cndmask_b32_e64 v45, v29, v45, s[36:37]                  // 00000000C04C: D100002D 00925B1D
	v_cmp_le_u32_e64 s[36:37], v18, v28                        // 00000000C054: D0CB0024 00023912
	v_add_u32_e32 v18, 16, v18                                 // 00000000C05C: 68242490
	s_nop 0                                                    // 00000000C060: BF800000
	v_cndmask_b32_e64 v46, v29, v46, s[36:37]                  // 00000000C064: D100002E 00925D1D
	v_cmp_le_u32_e64 s[36:37], v19, v28                        // 00000000C06C: D0CB0024 00023913
	v_add_u32_e32 v19, 16, v19                                 // 00000000C074: 68262690
	s_nop 0                                                    // 00000000C078: BF800000
	v_cndmask_b32_e64 v47, v29, v47, s[36:37]                  // 00000000C07C: D100002F 00925F1D
	v_cmp_le_u32_e64 s[36:37], v20, v28                        // 00000000C084: D0CB0024 00023914
	v_add_u32_e32 v20, 16, v20                                 // 00000000C08C: 68282890
	s_nop 0                                                    // 00000000C090: BF800000
	v_cndmask_b32_e64 v48, v29, v48, s[36:37]                  // 00000000C094: D1000030 0092611D
	v_cmp_le_u32_e64 s[36:37], v21, v28                        // 00000000C09C: D0CB0024 00023915
	v_add_u32_e32 v21, 16, v21                                 // 00000000C0A4: 682A2A90
	s_nop 0                                                    // 00000000C0A8: BF800000
	v_cndmask_b32_e64 v49, v29, v49, s[36:37]                  // 00000000C0AC: D1000031 0092631D

000000000000c0b4 <label_9BB4>:
	s_add_u32 s83, s84, s83                                    // 00000000C0B4: 80535354
	s_nop 2                                                    // 00000000C0B8: BF800002
	v_mov_b32_e32 v29, v42                                     // 00000000C0BC: 7E3A032A
	v_max3_f32 v29, v42, v43, v29                              // 00000000C0C0: D1D3001D 0476572A
	v_max3_f32 v29, v44, v45, v29                              // 00000000C0C8: D1D3001D 04765B2C
	v_max3_f32 v29, v46, v47, v29                              // 00000000C0D0: D1D3001D 04765F2E
	v_max3_f32 v29, v48, v49, v29                              // 00000000C0D8: D1D3001D 04766330
	v_mov_b32_e32 v28, v29                                     // 00000000C0E0: 7E38031D
	v_mov_b32_e32 v29, v29                                     // 00000000C0E4: 7E3A031D
	s_nop 1                                                    // 00000000C0E8: BF800001
	v_permlane16_swap_b32_e32 v28, v29                         // 00000000C0EC: 7E38B31D
	v_mov_b32_e32 v31, v28                                     // 00000000C0F0: 7E3E031C
	v_mov_b32_e32 v30, v29                                     // 00000000C0F4: 7E3C031D
	s_nop 1                                                    // 00000000C0F8: BF800001
	v_permlane32_swap_b32_e32 v28, v29                         // 00000000C0FC: 7E38B51D
	v_permlane32_swap_b32_e32 v30, v31                         // 00000000C100: 7E3CB51F
	v_max3_f32 v29, v28, v29, v29                              // 00000000C104: D1D3001D 04763B1C
	v_max3_f32 v29, v30, v31, v29                              // 00000000C10C: D1D3001D 04763F1E
	v_mov_b32_e32 v28, 0xff800000                              // 00000000C114: 7E3802FF FF800000
	v_cmp_eq_u32_e64 s[36:37], v28, v2                         // 00000000C11C: D0CA0024 0002051C
	v_max_f32_e32 v29, v29, v2                                 // 00000000C124: 163A051D
	v_sub_f32_e32 v16, v2, v29                                 // 00000000C128: 04203B02
	v_cndmask_b32_e64 v16, v16, 0, s[36:37]                    // 00000000C12C: D1000010 00910110
	v_mov_b32_e32 v2, v29                                      // 00000000C134: 7E04031D
	v_mul_f32_e32 v29, s5, v29                                 // 00000000C138: 0A3A3A05
	v_mul_f32_e32 v16, s5, v16                                 // 00000000C13C: 0A202005
	v_exp_f32_e32 v16, v16                                     // 00000000C140: 7E204110
	v_fma_f32 v42, v42, s5, -v29                               // 00000000C144: D1CB002A 84740B2A
	v_fma_f32 v43, v43, s5, -v29                               // 00000000C14C: D1CB002B 84740B2B
	v_fma_f32 v44, v44, s5, -v29                               // 00000000C154: D1CB002C 84740B2C
	v_fma_f32 v45, v45, s5, -v29                               // 00000000C15C: D1CB002D 84740B2D
	v_fma_f32 v46, v46, s5, -v29                               // 00000000C164: D1CB002E 84740B2E
	v_fma_f32 v47, v47, s5, -v29                               // 00000000C16C: D1CB002F 84740B2F
	v_fma_f32 v48, v48, s5, -v29                               // 00000000C174: D1CB0030 84740B30
	v_fma_f32 v49, v49, s5, -v29                               // 00000000C17C: D1CB0031 84740B31
	v_exp_f32_e32 v42, v42                                     // 00000000C184: 7E54412A
	v_exp_f32_e32 v43, v43                                     // 00000000C188: 7E56412B
	v_exp_f32_e32 v44, v44                                     // 00000000C18C: 7E58412C
	v_exp_f32_e32 v45, v45                                     // 00000000C190: 7E5A412D
	v_exp_f32_e32 v46, v46                                     // 00000000C194: 7E5C412E
	v_exp_f32_e32 v47, v47                                     // 00000000C198: 7E5E412F
	v_exp_f32_e32 v48, v48                                     // 00000000C19C: 7E604130
	v_exp_f32_e32 v49, v49                                     // 00000000C1A0: 7E624131
	v_mul_f32_e32 v4, v16, v4                                  // 00000000C1A4: 0A080910
	v_mov_b32_e32 v28, v42                                     // 00000000C1A8: 7E38032A
	v_add_f32_e32 v28, v43, v28                                // 00000000C1AC: 0238392B
	v_add_f32_e32 v28, v44, v28                                // 00000000C1B0: 0238392C
	v_add_f32_e32 v28, v45, v28                                // 00000000C1B4: 0238392D
	v_add_f32_e32 v28, v46, v28                                // 00000000C1B8: 0238392E
	v_add_f32_e32 v28, v47, v28                                // 00000000C1BC: 0238392F
	v_add_f32_e32 v28, v48, v28                                // 00000000C1C0: 02383930
	v_add_f32_e32 v28, v49, v28                                // 00000000C1C4: 02383931
	v_add_f32_e32 v4, v28, v4                                  // 00000000C1C8: 0208091C
	v_cvt_pk_bf16_f32 v42, v42, v43                            // 00000000C1CC: D268002A 0002572A
	v_cvt_pk_bf16_f32 v43, v44, v45                            // 00000000C1D4: D268002B 00025B2C
	v_cvt_pk_bf16_f32 v44, v46, v47                            // 00000000C1DC: D268002C 00025F2E
	v_cvt_pk_bf16_f32 v45, v48, v49                            // 00000000C1E4: D268002D 00026330
	s_nop 0                                                    // 00000000C1EC: BF800000
	v_permlane32_swap_b32_e32 v42, v44                         // 00000000C1F0: 7E54B52C
	v_permlane32_swap_b32_e32 v43, v45                         // 00000000C1F4: 7E56B52D
	s_nop 0                                                    // 00000000C1F8: BF800000
	v_permlane16_swap_b32_e32 v42, v44                         // 00000000C1FC: 7E54B32C
	v_permlane16_swap_b32_e32 v43, v45                         // 00000000C200: 7E56B32D
	v_mov_b32_e32 v30, v16                                     // 00000000C204: 7E3C0310
	v_mov_b32_e32 v31, v16                                     // 00000000C208: 7E3E0310
	v_pk_mul_f32 v[50:51], v[30:31], v[50:51]                  // 00000000C20C: D3B14032 1802651E
	v_pk_mul_f32 v[52:53], v[30:31], v[52:53]                  // 00000000C214: D3B14034 1802691E
	v_pk_mul_f32 v[54:55], v[30:31], v[54:55]                  // 00000000C21C: D3B14036 18026D1E
	v_pk_mul_f32 v[56:57], v[30:31], v[56:57]                  // 00000000C224: D3B14038 1802711E
	v_pk_mul_f32 v[58:59], v[30:31], v[58:59]                  // 00000000C22C: D3B1403A 1802751E
	v_pk_mul_f32 v[60:61], v[30:31], v[60:61]                  // 00000000C234: D3B1403C 1802791E
	v_pk_mul_f32 v[62:63], v[30:31], v[62:63]                  // 00000000C23C: D3B1403E 18027D1E
	v_pk_mul_f32 v[64:65], v[30:31], v[64:65]                  // 00000000C244: D3B14040 1802811E
	v_pk_mul_f32 v[66:67], v[30:31], v[66:67]                  // 00000000C24C: D3B14042 1802851E
	v_pk_mul_f32 v[68:69], v[30:31], v[68:69]                  // 00000000C254: D3B14044 1802891E
	v_pk_mul_f32 v[70:71], v[30:31], v[70:71]                  // 00000000C25C: D3B14046 18028D1E
	v_pk_mul_f32 v[72:73], v[30:31], v[72:73]                  // 00000000C264: D3B14048 1802911E
	v_pk_mul_f32 v[74:75], v[30:31], v[74:75]                  // 00000000C26C: D3B1404A 1802951E
	v_pk_mul_f32 v[76:77], v[30:31], v[76:77]                  // 00000000C274: D3B1404C 1802991E
	v_pk_mul_f32 v[78:79], v[30:31], v[78:79]                  // 00000000C27C: D3B1404E 18029D1E
	v_pk_mul_f32 v[80:81], v[30:31], v[80:81]                  // 00000000C284: D3B14050 1802A11E
	v_pk_mul_f32 v[82:83], v[30:31], v[82:83]                  // 00000000C28C: D3B14052 1802A51E
	v_pk_mul_f32 v[84:85], v[30:31], v[84:85]                  // 00000000C294: D3B14054 1802A91E
	v_pk_mul_f32 v[86:87], v[30:31], v[86:87]                  // 00000000C29C: D3B14056 1802AD1E
	v_pk_mul_f32 v[88:89], v[30:31], v[88:89]                  // 00000000C2A4: D3B14058 1802B11E
	v_pk_mul_f32 v[90:91], v[30:31], v[90:91]                  // 00000000C2AC: D3B1405A 1802B51E
	v_pk_mul_f32 v[92:93], v[30:31], v[92:93]                  // 00000000C2B4: D3B1405C 1802B91E
	v_pk_mul_f32 v[94:95], v[30:31], v[94:95]                  // 00000000C2BC: D3B1405E 1802BD1E
	v_pk_mul_f32 v[96:97], v[30:31], v[96:97]                  // 00000000C2C4: D3B14060 1802C11E
	v_pk_mul_f32 v[98:99], v[30:31], v[98:99]                  // 00000000C2CC: D3B14062 1802C51E
	v_pk_mul_f32 v[100:101], v[30:31], v[100:101]              // 00000000C2D4: D3B14064 1802C91E
	v_pk_mul_f32 v[102:103], v[30:31], v[102:103]              // 00000000C2DC: D3B14066 1802CD1E
	v_pk_mul_f32 v[104:105], v[30:31], v[104:105]              // 00000000C2E4: D3B14068 1802D11E
	v_pk_mul_f32 v[106:107], v[30:31], v[106:107]              // 00000000C2EC: D3B1406A 1802D51E
	v_pk_mul_f32 v[108:109], v[30:31], v[108:109]              // 00000000C2F4: D3B1406C 1802D91E
	v_pk_mul_f32 v[110:111], v[30:31], v[110:111]              // 00000000C2FC: D3B1406E 1802DD1E
	v_pk_mul_f32 v[112:113], v[30:31], v[112:113]              // 00000000C304: D3B14070 1802E11E
	v_pk_mul_f32 v[114:115], v[30:31], v[114:115]              // 00000000C30C: D3B14072 1802E51E
	v_pk_mul_f32 v[116:117], v[30:31], v[116:117]              // 00000000C314: D3B14074 1802E91E
	v_pk_mul_f32 v[118:119], v[30:31], v[118:119]              // 00000000C31C: D3B14076 1802ED1E
	v_pk_mul_f32 v[120:121], v[30:31], v[120:121]              // 00000000C324: D3B14078 1802F11E
	v_pk_mul_f32 v[122:123], v[30:31], v[122:123]              // 00000000C32C: D3B1407A 1802F51E
	v_pk_mul_f32 v[124:125], v[30:31], v[124:125]              // 00000000C334: D3B1407C 1802F91E
	v_pk_mul_f32 v[126:127], v[30:31], v[126:127]              // 00000000C33C: D3B1407E 1802FD1E
	v_pk_mul_f32 v[128:129], v[30:31], v[128:129]              // 00000000C344: D3B14080 1803011E
	v_pk_mul_f32 v[130:131], v[30:31], v[130:131]              // 00000000C34C: D3B14082 1803051E
	v_pk_mul_f32 v[132:133], v[30:31], v[132:133]              // 00000000C354: D3B14084 1803091E
	v_pk_mul_f32 v[134:135], v[30:31], v[134:135]              // 00000000C35C: D3B14086 18030D1E
	v_pk_mul_f32 v[136:137], v[30:31], v[136:137]              // 00000000C364: D3B14088 1803111E
	v_pk_mul_f32 v[138:139], v[30:31], v[138:139]              // 00000000C36C: D3B1408A 1803151E
	v_pk_mul_f32 v[140:141], v[30:31], v[140:141]              // 00000000C374: D3B1408C 1803191E
	v_pk_mul_f32 v[142:143], v[30:31], v[142:143]              // 00000000C37C: D3B1408E 18031D1E
	v_pk_mul_f32 v[144:145], v[30:31], v[144:145]              // 00000000C384: D3B14090 1803211E
	v_pk_mul_f32 v[146:147], v[30:31], v[146:147]              // 00000000C38C: D3B14092 1803251E
	v_pk_mul_f32 v[148:149], v[30:31], v[148:149]              // 00000000C394: D3B14094 1803291E
	v_pk_mul_f32 v[150:151], v[30:31], v[150:151]              // 00000000C39C: D3B14096 18032D1E
	v_pk_mul_f32 v[152:153], v[30:31], v[152:153]              // 00000000C3A4: D3B14098 1803311E
	v_pk_mul_f32 v[154:155], v[30:31], v[154:155]              // 00000000C3AC: D3B1409A 1803351E
	v_pk_mul_f32 v[156:157], v[30:31], v[156:157]              // 00000000C3B4: D3B1409C 1803391E
	v_pk_mul_f32 v[158:159], v[30:31], v[158:159]              // 00000000C3BC: D3B1409E 18033D1E
	v_pk_mul_f32 v[160:161], v[30:31], v[160:161]              // 00000000C3C4: D3B140A0 1803411E
	v_pk_mul_f32 v[162:163], v[30:31], v[162:163]              // 00000000C3CC: D3B140A2 1803451E
	v_pk_mul_f32 v[164:165], v[30:31], v[164:165]              // 00000000C3D4: D3B140A4 1803491E
	v_pk_mul_f32 v[166:167], v[30:31], v[166:167]              // 00000000C3DC: D3B140A6 18034D1E
	v_pk_mul_f32 v[168:169], v[30:31], v[168:169]              // 00000000C3E4: D3B140A8 1803511E
	v_pk_mul_f32 v[170:171], v[30:31], v[170:171]              // 00000000C3EC: D3B140AA 1803551E
	v_pk_mul_f32 v[172:173], v[30:31], v[172:173]              // 00000000C3F4: D3B140AC 1803591E
	v_pk_mul_f32 v[174:175], v[30:31], v[174:175]              // 00000000C3FC: D3B140AE 18035D1E
	v_pk_mul_f32 v[176:177], v[30:31], v[176:177]              // 00000000C404: D3B140B0 1803611E
	s_waitcnt lgkmcnt(0)                                       // 00000000C40C: BF8CC07F
	v_mfma_f32_16x16x32_bf16 v[50:53], a[144:147], v[42:45], v[50:53]// 00000000C410: D3B50032 0CCA5590
	v_mfma_f32_16x16x32_bf16 v[54:57], a[148:151], v[42:45], v[54:57]// 00000000C418: D3B50036 0CDA5594
	v_mfma_f32_16x16x32_bf16 v[58:61], a[152:155], v[42:45], v[58:61]// 00000000C420: D3B5003A 0CEA5598
	v_mfma_f32_16x16x32_bf16 v[62:65], a[156:159], v[42:45], v[62:65]// 00000000C428: D3B5003E 0CFA559C
	v_mfma_f32_16x16x32_bf16 v[66:69], a[160:163], v[42:45], v[66:69]// 00000000C430: D3B50042 0D0A55A0
	v_mfma_f32_16x16x32_bf16 v[70:73], a[164:167], v[42:45], v[70:73]// 00000000C438: D3B50046 0D1A55A4
	v_mfma_f32_16x16x32_bf16 v[74:77], a[168:171], v[42:45], v[74:77]// 00000000C440: D3B5004A 0D2A55A8
	v_mfma_f32_16x16x32_bf16 v[78:81], a[172:175], v[42:45], v[78:81]// 00000000C448: D3B5004E 0D3A55AC
	v_mfma_f32_16x16x32_bf16 v[82:85], a[176:179], v[42:45], v[82:85]// 00000000C450: D3B50052 0D4A55B0
	v_mfma_f32_16x16x32_bf16 v[86:89], a[180:183], v[42:45], v[86:89]// 00000000C458: D3B50056 0D5A55B4
	v_mfma_f32_16x16x32_bf16 v[90:93], a[184:187], v[42:45], v[90:93]// 00000000C460: D3B5005A 0D6A55B8
	ds_read_b64_tr_b16 a[144:145], v10 offset:8192             // 00000000C468: DBC62000 9000000A
	ds_read_b64_tr_b16 a[146:147], v10 offset:8448             // 00000000C470: DBC62100 9200000A
	ds_read_b64_tr_b16 a[148:149], v11 offset:8192             // 00000000C478: DBC62000 9400000B
	ds_read_b64_tr_b16 a[150:151], v11 offset:8448             // 00000000C480: DBC62100 9600000B
	v_mfma_f32_16x16x32_bf16 v[94:97], a[188:191], v[42:45], v[94:97]// 00000000C488: D3B5005E 0D7A55BC
	ds_read_b64_tr_b16 a[152:153], v10 offset:9216             // 00000000C490: DBC62400 9800000A
	ds_read_b64_tr_b16 a[154:155], v10 offset:9472             // 00000000C498: DBC62500 9A00000A
	ds_read_b64_tr_b16 a[156:157], v11 offset:9216             // 00000000C4A0: DBC62400 9C00000B
	ds_read_b64_tr_b16 a[158:159], v11 offset:9472             // 00000000C4A8: DBC62500 9E00000B
	v_mfma_f32_16x16x32_bf16 v[98:101], a[192:195], v[42:45], v[98:101]// 00000000C4B0: D3B50062 0D8A55C0
	ds_read_b64_tr_b16 a[160:161], v10 offset:10240            // 00000000C4B8: DBC62800 A000000A
	ds_read_b64_tr_b16 a[162:163], v10 offset:10496            // 00000000C4C0: DBC62900 A200000A
	ds_read_b64_tr_b16 a[164:165], v11 offset:10240            // 00000000C4C8: DBC62800 A400000B
	ds_read_b64_tr_b16 a[166:167], v11 offset:10496            // 00000000C4D0: DBC62900 A600000B
	v_mfma_f32_16x16x32_bf16 v[102:105], a[196:199], v[42:45], v[102:105]// 00000000C4D8: D3B50066 0D9A55C4
	ds_read_b64_tr_b16 a[168:169], v10 offset:11264            // 00000000C4E0: DBC62C00 A800000A
	ds_read_b64_tr_b16 a[170:171], v10 offset:11520            // 00000000C4E8: DBC62D00 AA00000A
	ds_read_b64_tr_b16 a[172:173], v11 offset:11264            // 00000000C4F0: DBC62C00 AC00000B
	ds_read_b64_tr_b16 a[174:175], v11 offset:11520            // 00000000C4F8: DBC62D00 AE00000B
	v_mfma_f32_16x16x32_bf16 v[106:109], a[200:203], v[42:45], v[106:109]// 00000000C500: D3B5006A 0DAA55C8
	ds_read_b64_tr_b16 a[176:177], v10 offset:12288            // 00000000C508: DBC63000 B000000A
	ds_read_b64_tr_b16 a[178:179], v10 offset:12544            // 00000000C510: DBC63100 B200000A
	ds_read_b64_tr_b16 a[180:181], v11 offset:12288            // 00000000C518: DBC63000 B400000B
	ds_read_b64_tr_b16 a[182:183], v11 offset:12544            // 00000000C520: DBC63100 B600000B
	v_mfma_f32_16x16x32_bf16 v[110:113], a[204:207], v[42:45], v[110:113]// 00000000C528: D3B5006E 0DBA55CC
	ds_read_b64_tr_b16 a[184:185], v10 offset:13312            // 00000000C530: DBC63400 B800000A
	ds_read_b64_tr_b16 a[186:187], v10 offset:13568            // 00000000C538: DBC63500 BA00000A
	ds_read_b64_tr_b16 a[188:189], v11 offset:13312            // 00000000C540: DBC63400 BC00000B
	ds_read_b64_tr_b16 a[190:191], v11 offset:13568            // 00000000C548: DBC63500 BE00000B
	ds_read_b64_tr_b16 a[192:193], v10 offset:14336            // 00000000C550: DBC63800 C000000A
	ds_read_b64_tr_b16 a[194:195], v10 offset:14592            // 00000000C558: DBC63900 C200000A
	ds_read_b64_tr_b16 a[196:197], v11 offset:14336            // 00000000C560: DBC63800 C400000B
	ds_read_b64_tr_b16 a[198:199], v11 offset:14592            // 00000000C568: DBC63900 C600000B
	ds_read_b64_tr_b16 a[200:201], v10 offset:15360            // 00000000C570: DBC63C00 C800000A
	ds_read_b64_tr_b16 a[202:203], v10 offset:15616            // 00000000C578: DBC63D00 CA00000A
	ds_read_b64_tr_b16 a[204:205], v11 offset:15360            // 00000000C580: DBC63C00 CC00000B
	ds_read_b64_tr_b16 a[206:207], v11 offset:15616            // 00000000C588: DBC63D00 CE00000B
	s_waitcnt lgkmcnt(0)                                       // 00000000C590: BF8CC07F
	v_mfma_f32_16x16x32_bf16 v[114:117], a[144:147], v[42:45], v[114:117]// 00000000C594: D3B50072 0DCA5590
	v_mfma_f32_16x16x32_bf16 v[118:121], a[148:151], v[42:45], v[118:121]// 00000000C59C: D3B50076 0DDA5594
	v_mfma_f32_16x16x32_bf16 v[122:125], a[152:155], v[42:45], v[122:125]// 00000000C5A4: D3B5007A 0DEA5598
	v_mfma_f32_16x16x32_bf16 v[126:129], a[156:159], v[42:45], v[126:129]// 00000000C5AC: D3B5007E 0DFA559C
	v_mfma_f32_16x16x32_bf16 v[130:133], a[160:163], v[42:45], v[130:133]// 00000000C5B4: D3B50082 0E0A55A0
	v_mfma_f32_16x16x32_bf16 v[134:137], a[164:167], v[42:45], v[134:137]// 00000000C5BC: D3B50086 0E1A55A4
	v_mfma_f32_16x16x32_bf16 v[138:141], a[168:171], v[42:45], v[138:141]// 00000000C5C4: D3B5008A 0E2A55A8
	v_mfma_f32_16x16x32_bf16 v[142:145], a[172:175], v[42:45], v[142:145]// 00000000C5CC: D3B5008E 0E3A55AC
	v_mfma_f32_16x16x32_bf16 v[146:149], a[176:179], v[42:45], v[146:149]// 00000000C5D4: D3B50092 0E4A55B0
	v_mfma_f32_16x16x32_bf16 v[150:153], a[180:183], v[42:45], v[150:153]// 00000000C5DC: D3B50096 0E5A55B4
	v_mfma_f32_16x16x32_bf16 v[154:157], a[184:187], v[42:45], v[154:157]// 00000000C5E4: D3B5009A 0E6A55B8
	v_mfma_f32_16x16x32_bf16 v[158:161], a[188:191], v[42:45], v[158:161]// 00000000C5EC: D3B5009E 0E7A55BC
	v_mfma_f32_16x16x32_bf16 v[162:165], a[192:195], v[42:45], v[162:165]// 00000000C5F4: D3B500A2 0E8A55C0
	v_mfma_f32_16x16x32_bf16 v[166:169], a[196:199], v[42:45], v[166:169]// 00000000C5FC: D3B500A6 0E9A55C4
	v_mfma_f32_16x16x32_bf16 v[170:173], a[200:203], v[42:45], v[170:173]// 00000000C604: D3B500AA 0EAA55C8
	v_mfma_f32_16x16x32_bf16 v[174:177], a[204:207], v[42:45], v[174:177]// 00000000C60C: D3B500AE 0EBA55CC
	s_nop 8                                                    // 00000000C614: BF800008
	s_branch label_B75C                                        // 00000000C618: BF82050E

000000000000c61c <label_A11C>:
	s_waitcnt lgkmcnt(0)                                       // 00000000C61C: BF8CC07F
	v_mfma_f32_16x16x32_bf16 v[34:37], a[72:75], a[0:3], 0     // 00000000C620: D3B50022 1A020148
	v_mfma_f32_16x16x32_bf16 v[34:37], a[76:79], a[4:7], v[34:37]// 00000000C628: D3B50022 1C8A094C
	v_mfma_f32_16x16x32_bf16 v[34:37], a[80:83], a[8:11], v[34:37]// 00000000C630: D3B50022 1C8A1150
	v_mfma_f32_16x16x32_bf16 v[34:37], a[84:87], a[12:15], v[34:37]// 00000000C638: D3B50022 1C8A1954
	v_mfma_f32_16x16x32_bf16 v[34:37], a[88:91], a[16:19], v[34:37]// 00000000C640: D3B50022 1C8A2158
	v_mfma_f32_16x16x32_bf16 v[34:37], a[92:95], a[20:23], v[34:37]// 00000000C648: D3B50022 1C8A295C
	v_mfma_f32_16x16x32_bf16 v[34:37], a[96:99], a[24:27], v[34:37]// 00000000C650: D3B50022 1C8A3160
	v_mfma_f32_16x16x32_bf16 v[34:37], a[100:103], a[28:31], v[34:37]// 00000000C658: D3B50022 1C8A3964
	ds_read_b128 a[72:75], v20 offset:18432                    // 00000000C660: DBFE4800 48000014
	ds_read_b128 a[76:79], v20 offset:19456                    // 00000000C668: DBFE4C00 4C000014
	v_mfma_f32_16x16x32_bf16 v[34:37], a[104:107], a[32:35], v[34:37]// 00000000C670: D3B50022 1C8A4168
	v_mfma_f32_16x16x32_bf16 v[34:37], a[108:111], a[36:39], v[34:37]// 00000000C678: D3B50022 1C8A496C
	ds_read_b128 a[80:83], v20 offset:20480                    // 00000000C680: DBFE5000 50000014
	ds_read_b128 a[84:87], v20 offset:21504                    // 00000000C688: DBFE5400 54000014
	v_mfma_f32_16x16x32_bf16 v[34:37], a[112:115], a[40:43], v[34:37]// 00000000C690: D3B50022 1C8A5170
	v_mfma_f32_16x16x32_bf16 v[34:37], a[116:119], a[44:47], v[34:37]// 00000000C698: D3B50022 1C8A5974
	ds_read_b128 a[88:91], v20 offset:22528                    // 00000000C6A0: DBFE5800 58000014
	ds_read_b128 a[92:95], v20 offset:23552                    // 00000000C6A8: DBFE5C00 5C000014
	v_mfma_f32_16x16x32_bf16 v[34:37], a[120:123], a[48:51], v[34:37]// 00000000C6B0: D3B50022 1C8A6178
	v_mfma_f32_16x16x32_bf16 v[34:37], a[124:127], a[52:55], v[34:37]// 00000000C6B8: D3B50022 1C8A697C
	ds_read_b128 a[96:99], v20 offset:24576                    // 00000000C6C0: DBFE6000 60000014
	ds_read_b128 a[100:103], v20 offset:25600                  // 00000000C6C8: DBFE6400 64000014
	v_mfma_f32_16x16x32_bf16 v[34:37], a[128:131], a[56:59], v[34:37]// 00000000C6D0: D3B50022 1C8A7180
	v_mfma_f32_16x16x32_bf16 v[34:37], a[132:135], a[60:63], v[34:37]// 00000000C6D8: D3B50022 1C8A7984
	ds_read_b128 a[104:107], v20 offset:26624                  // 00000000C6E0: DBFE6800 68000014
	ds_read_b128 a[108:111], v20 offset:27648                  // 00000000C6E8: DBFE6C00 6C000014
	v_mfma_f32_16x16x32_bf16 v[34:37], a[136:139], a[64:67], v[34:37]// 00000000C6F0: D3B50022 1C8A8188
	v_mfma_f32_16x16x32_bf16 v[34:37], a[140:143], a[68:71], v[34:37]// 00000000C6F8: D3B50022 1C8A898C
	ds_read_b128 a[112:115], v20 offset:28672                  // 00000000C700: DBFE7000 70000014
	ds_read_b128 a[116:119], v20 offset:29696                  // 00000000C708: DBFE7400 74000014
	ds_read_b128 a[120:123], v20 offset:30720                  // 00000000C710: DBFE7800 78000014
	ds_read_b128 a[124:127], v20 offset:31744                  // 00000000C718: DBFE7C00 7C000014
	ds_read_b128 a[128:131], v20 offset:32768                  // 00000000C720: DBFE8000 80000014
	ds_read_b128 a[132:135], v20 offset:33792                  // 00000000C728: DBFE8400 84000014
	ds_read_b128 a[136:139], v20 offset:34816                  // 00000000C730: DBFE8800 88000014
	ds_read_b128 a[140:143], v20 offset:35840                  // 00000000C738: DBFE8C00 8C000014
	s_waitcnt lgkmcnt(0)                                       // 00000000C740: BF8CC07F
	v_mfma_f32_16x16x32_bf16 v[38:41], a[72:75], a[0:3], 0     // 00000000C744: D3B50026 1A020148
	ds_read_b64_tr_b16 a[144:145], v12                         // 00000000C74C: DBC60000 9000000C
	ds_read_b64_tr_b16 a[146:147], v12 offset:256              // 00000000C754: DBC60100 9200000C
	ds_read_b64_tr_b16 a[148:149], v13                         // 00000000C75C: DBC60000 9400000D
	ds_read_b64_tr_b16 a[150:151], v13 offset:256              // 00000000C764: DBC60100 9600000D
	v_mfma_f32_16x16x32_bf16 v[38:41], a[76:79], a[4:7], v[38:41]// 00000000C76C: D3B50026 1C9A094C
	ds_read_b64_tr_b16 a[152:153], v12 offset:1024             // 00000000C774: DBC60400 9800000C
	ds_read_b64_tr_b16 a[154:155], v12 offset:1280             // 00000000C77C: DBC60500 9A00000C
	ds_read_b64_tr_b16 a[156:157], v13 offset:1024             // 00000000C784: DBC60400 9C00000D
	ds_read_b64_tr_b16 a[158:159], v13 offset:1280             // 00000000C78C: DBC60500 9E00000D
	v_mfma_f32_16x16x32_bf16 v[38:41], a[80:83], a[8:11], v[38:41]// 00000000C794: D3B50026 1C9A1150
	ds_read_b64_tr_b16 a[160:161], v12 offset:2048             // 00000000C79C: DBC60800 A000000C
	ds_read_b64_tr_b16 a[162:163], v12 offset:2304             // 00000000C7A4: DBC60900 A200000C
	ds_read_b64_tr_b16 a[164:165], v13 offset:2048             // 00000000C7AC: DBC60800 A400000D
	ds_read_b64_tr_b16 a[166:167], v13 offset:2304             // 00000000C7B4: DBC60900 A600000D
	v_mfma_f32_16x16x32_bf16 v[38:41], a[84:87], a[12:15], v[38:41]// 00000000C7BC: D3B50026 1C9A1954
	ds_read_b64_tr_b16 a[168:169], v12 offset:3072             // 00000000C7C4: DBC60C00 A800000C
	ds_read_b64_tr_b16 a[170:171], v12 offset:3328             // 00000000C7CC: DBC60D00 AA00000C
	ds_read_b64_tr_b16 a[172:173], v13 offset:3072             // 00000000C7D4: DBC60C00 AC00000D
	ds_read_b64_tr_b16 a[174:175], v13 offset:3328             // 00000000C7DC: DBC60D00 AE00000D
	v_mfma_f32_16x16x32_bf16 v[38:41], a[88:91], a[16:19], v[38:41]// 00000000C7E4: D3B50026 1C9A2158
	ds_read_b64_tr_b16 a[176:177], v12 offset:4096             // 00000000C7EC: DBC61000 B000000C
	ds_read_b64_tr_b16 a[178:179], v12 offset:4352             // 00000000C7F4: DBC61100 B200000C
	ds_read_b64_tr_b16 a[180:181], v13 offset:4096             // 00000000C7FC: DBC61000 B400000D
	ds_read_b64_tr_b16 a[182:183], v13 offset:4352             // 00000000C804: DBC61100 B600000D
	v_mfma_f32_16x16x32_bf16 v[38:41], a[92:95], a[20:23], v[38:41]// 00000000C80C: D3B50026 1C9A295C
	ds_read_b64_tr_b16 a[184:185], v12 offset:5120             // 00000000C814: DBC61400 B800000C
	ds_read_b64_tr_b16 a[186:187], v12 offset:5376             // 00000000C81C: DBC61500 BA00000C
	ds_read_b64_tr_b16 a[188:189], v13 offset:5120             // 00000000C824: DBC61400 BC00000D
	ds_read_b64_tr_b16 a[190:191], v13 offset:5376             // 00000000C82C: DBC61500 BE00000D
	v_mfma_f32_16x16x32_bf16 v[38:41], a[96:99], a[24:27], v[38:41]// 00000000C834: D3B50026 1C9A3160
	ds_read_b64_tr_b16 a[192:193], v12 offset:6144             // 00000000C83C: DBC61800 C000000C
	ds_read_b64_tr_b16 a[194:195], v12 offset:6400             // 00000000C844: DBC61900 C200000C
	ds_read_b64_tr_b16 a[196:197], v13 offset:6144             // 00000000C84C: DBC61800 C400000D
	ds_read_b64_tr_b16 a[198:199], v13 offset:6400             // 00000000C854: DBC61900 C600000D
	v_mfma_f32_16x16x32_bf16 v[38:41], a[100:103], a[28:31], v[38:41]// 00000000C85C: D3B50026 1C9A3964
	ds_read_b64_tr_b16 a[200:201], v12 offset:7168             // 00000000C864: DBC61C00 C800000C
	ds_read_b64_tr_b16 a[202:203], v12 offset:7424             // 00000000C86C: DBC61D00 CA00000C
	ds_read_b64_tr_b16 a[204:205], v13 offset:7168             // 00000000C874: DBC61C00 CC00000D
	ds_read_b64_tr_b16 a[206:207], v13 offset:7424             // 00000000C87C: DBC61D00 CE00000D
	v_mfma_f32_16x16x32_bf16 v[38:41], a[104:107], a[32:35], v[38:41]// 00000000C884: D3B50026 1C9A4168
	v_mfma_f32_16x16x32_bf16 v[38:41], a[108:111], a[36:39], v[38:41]// 00000000C88C: D3B50026 1C9A496C
	v_mfma_f32_16x16x32_bf16 v[38:41], a[112:115], a[40:43], v[38:41]// 00000000C894: D3B50026 1C9A5170
	v_mfma_f32_16x16x32_bf16 v[38:41], a[116:119], a[44:47], v[38:41]// 00000000C89C: D3B50026 1C9A5974
	v_mfma_f32_16x16x32_bf16 v[38:41], a[120:123], a[48:51], v[38:41]// 00000000C8A4: D3B50026 1C9A6178
	v_mfma_f32_16x16x32_bf16 v[38:41], a[124:127], a[52:55], v[38:41]// 00000000C8AC: D3B50026 1C9A697C
	v_mfma_f32_16x16x32_bf16 v[38:41], a[128:131], a[56:59], v[38:41]// 00000000C8B4: D3B50026 1C9A7180
	v_mfma_f32_16x16x32_bf16 v[38:41], a[132:135], a[60:63], v[38:41]// 00000000C8BC: D3B50026 1C9A7984
	v_mfma_f32_16x16x32_bf16 v[38:41], a[136:139], a[64:67], v[38:41]// 00000000C8C4: D3B50026 1C9A8188
	v_mfma_f32_16x16x32_bf16 v[38:41], a[140:143], a[68:71], v[38:41]// 00000000C8CC: D3B50026 1C9A898C
	s_nop 8                                                    // 00000000C8D4: BF800008
	s_and_b32 s56, s48, 0xff                                   // 00000000C8D8: 8638FF30 000000FF
	v_mov_b32_e32 v29, s56                                     // 00000000C8E0: 7E3A0238
	v_lshrrev_b32_e32 v18, 4, v0                               // 00000000C8E4: 20240084
	v_mul_i32_i24_e32 v18, 4, v18                              // 00000000C8E8: 0C242484
	v_add_u32_e32 v19, 1, v18                                  // 00000000C8EC: 68262481
	v_add_u32_e32 v20, 2, v18                                  // 00000000C8F0: 68282482
	v_add_u32_e32 v21, 3, v18                                  // 00000000C8F4: 682A2483
	v_mov_b32_e32 v28, 0xff800000                              // 00000000C8F8: 7E3802FF FF800000
	v_cmp_lt_u32_e64 s[36:37], v18, v29                        // 00000000C900: D0C90024 00023B12
	v_add_u32_e32 v18, 16, v18                                 // 00000000C908: 68242490
	s_nop 0                                                    // 00000000C90C: BF800000
	v_cndmask_b32_e64 v34, v28, v34, s[36:37]                  // 00000000C910: D1000022 0092451C
	v_cmp_lt_u32_e64 s[36:37], v19, v29                        // 00000000C918: D0C90024 00023B13
	v_add_u32_e32 v19, 16, v19                                 // 00000000C920: 68262690
	s_nop 0                                                    // 00000000C924: BF800000
	v_cndmask_b32_e64 v35, v28, v35, s[36:37]                  // 00000000C928: D1000023 0092471C
	v_cmp_lt_u32_e64 s[36:37], v20, v29                        // 00000000C930: D0C90024 00023B14
	v_add_u32_e32 v20, 16, v20                                 // 00000000C938: 68282890
	s_nop 0                                                    // 00000000C93C: BF800000
	v_cndmask_b32_e64 v36, v28, v36, s[36:37]                  // 00000000C940: D1000024 0092491C
	v_cmp_lt_u32_e64 s[36:37], v21, v29                        // 00000000C948: D0C90024 00023B15
	v_add_u32_e32 v21, 16, v21                                 // 00000000C950: 682A2A90
	s_nop 0                                                    // 00000000C954: BF800000
	v_cndmask_b32_e64 v37, v28, v37, s[36:37]                  // 00000000C958: D1000025 00924B1C
	v_cmp_lt_u32_e64 s[36:37], v18, v29                        // 00000000C960: D0C90024 00023B12
	v_add_u32_e32 v18, 16, v18                                 // 00000000C968: 68242490
	s_nop 0                                                    // 00000000C96C: BF800000
	v_cndmask_b32_e64 v38, v28, v38, s[36:37]                  // 00000000C970: D1000026 00924D1C
	v_cmp_lt_u32_e64 s[36:37], v19, v29                        // 00000000C978: D0C90024 00023B13
	v_add_u32_e32 v19, 16, v19                                 // 00000000C980: 68262690
	s_nop 0                                                    // 00000000C984: BF800000
	v_cndmask_b32_e64 v39, v28, v39, s[36:37]                  // 00000000C988: D1000027 00924F1C
	v_cmp_lt_u32_e64 s[36:37], v20, v29                        // 00000000C990: D0C90024 00023B14
	v_add_u32_e32 v20, 16, v20                                 // 00000000C998: 68282890
	s_nop 0                                                    // 00000000C99C: BF800000
	v_cndmask_b32_e64 v40, v28, v40, s[36:37]                  // 00000000C9A0: D1000028 0092511C
	v_cmp_lt_u32_e64 s[36:37], v21, v29                        // 00000000C9A8: D0C90024 00023B15
	v_add_u32_e32 v21, 16, v21                                 // 00000000C9B0: 682A2A90
	s_nop 0                                                    // 00000000C9B4: BF800000
	v_cndmask_b32_e64 v41, v28, v41, s[36:37]                  // 00000000C9B8: D1000029 0092531C
	s_cmp_le_i32 s83, s82                                      // 00000000C9C0: BF055253
	s_cbranch_scc1 label_A5D0                                  // 00000000C9C4: BF850042
	v_mov_b32_e32 v28, s82                                     // 00000000C9C8: 7E380252
	s_cmp_eq_i32 s81, 1                                        // 00000000C9CC: BF008151
	s_cbranch_scc1 label_A4EC                                  // 00000000C9D0: BF850006
	s_cmp_eq_i32 s81, 2                                        // 00000000C9D4: BF008251
	s_cbranch_scc1 label_A4E4                                  // 00000000C9D8: BF850002
	v_add_u32_e32 v28, s7, v28                                 // 00000000C9DC: 68383807
	s_branch label_A4EC                                        // 00000000C9E0: BF820002

000000000000c9e4 <label_A4E4>:
	s_lshr_b32 s56, s7, 1                                      // 00000000C9E4: 8F388107
	v_add_u32_e32 v28, s56, v28                                // 00000000C9E8: 68383838

000000000000c9ec <label_A4EC>:
	s_sub_u32 s56, s83, 31                                     // 00000000C9EC: 80B89F53
	v_lshrrev_b32_e32 v18, 4, v0                               // 00000000C9F0: 20240084
	v_mul_i32_i24_e32 v18, 4, v18                              // 00000000C9F4: 0C242484
	v_add_u32_e32 v18, s56, v18                                // 00000000C9F8: 68242438
	v_add_u32_e32 v19, 1, v18                                  // 00000000C9FC: 68262481
	v_add_u32_e32 v20, 2, v18                                  // 00000000CA00: 68282482
	v_add_u32_e32 v21, 3, v18                                  // 00000000CA04: 682A2483
	v_mov_b32_e32 v29, 0xff800000                              // 00000000CA08: 7E3A02FF FF800000
	v_cmp_le_u32_e64 s[36:37], v18, v28                        // 00000000CA10: D0CB0024 00023912
	v_add_u32_e32 v18, 16, v18                                 // 00000000CA18: 68242490
	s_nop 0                                                    // 00000000CA1C: BF800000
	v_cndmask_b32_e64 v34, v29, v34, s[36:37]                  // 00000000CA20: D1000022 0092451D
	v_cmp_le_u32_e64 s[36:37], v19, v28                        // 00000000CA28: D0CB0024 00023913
	v_add_u32_e32 v19, 16, v19                                 // 00000000CA30: 68262690
	s_nop 0                                                    // 00000000CA34: BF800000
	v_cndmask_b32_e64 v35, v29, v35, s[36:37]                  // 00000000CA38: D1000023 0092471D
	v_cmp_le_u32_e64 s[36:37], v20, v28                        // 00000000CA40: D0CB0024 00023914
	v_add_u32_e32 v20, 16, v20                                 // 00000000CA48: 68282890
	s_nop 0                                                    // 00000000CA4C: BF800000
	v_cndmask_b32_e64 v36, v29, v36, s[36:37]                  // 00000000CA50: D1000024 0092491D
	v_cmp_le_u32_e64 s[36:37], v21, v28                        // 00000000CA58: D0CB0024 00023915
	v_add_u32_e32 v21, 16, v21                                 // 00000000CA60: 682A2A90
	s_nop 0                                                    // 00000000CA64: BF800000
	v_cndmask_b32_e64 v37, v29, v37, s[36:37]                  // 00000000CA68: D1000025 00924B1D
	v_cmp_le_u32_e64 s[36:37], v18, v28                        // 00000000CA70: D0CB0024 00023912
	v_add_u32_e32 v18, 16, v18                                 // 00000000CA78: 68242490
	s_nop 0                                                    // 00000000CA7C: BF800000
	v_cndmask_b32_e64 v38, v29, v38, s[36:37]                  // 00000000CA80: D1000026 00924D1D
	v_cmp_le_u32_e64 s[36:37], v19, v28                        // 00000000CA88: D0CB0024 00023913
	v_add_u32_e32 v19, 16, v19                                 // 00000000CA90: 68262690
	s_nop 0                                                    // 00000000CA94: BF800000
	v_cndmask_b32_e64 v39, v29, v39, s[36:37]                  // 00000000CA98: D1000027 00924F1D
	v_cmp_le_u32_e64 s[36:37], v20, v28                        // 00000000CAA0: D0CB0024 00023914
	v_add_u32_e32 v20, 16, v20                                 // 00000000CAA8: 68282890
	s_nop 0                                                    // 00000000CAAC: BF800000
	v_cndmask_b32_e64 v40, v29, v40, s[36:37]                  // 00000000CAB0: D1000028 0092511D
	v_cmp_le_u32_e64 s[36:37], v21, v28                        // 00000000CAB8: D0CB0024 00023915
	v_add_u32_e32 v21, 16, v21                                 // 00000000CAC0: 682A2A90
	s_nop 0                                                    // 00000000CAC4: BF800000
	v_cndmask_b32_e64 v41, v29, v41, s[36:37]                  // 00000000CAC8: D1000029 0092531D

000000000000cad0 <label_A5D0>:
	s_add_u32 s83, s84, s83                                    // 00000000CAD0: 80535354
	s_nop 2                                                    // 00000000CAD4: BF800002
	v_mov_b32_e32 v29, v34                                     // 00000000CAD8: 7E3A0322
	v_max3_f32 v29, v34, v35, v29                              // 00000000CADC: D1D3001D 04764722
	v_max3_f32 v29, v36, v37, v29                              // 00000000CAE4: D1D3001D 04764B24
	v_max3_f32 v29, v38, v39, v29                              // 00000000CAEC: D1D3001D 04764F26
	v_max3_f32 v29, v40, v41, v29                              // 00000000CAF4: D1D3001D 04765328
	v_mov_b32_e32 v28, v29                                     // 00000000CAFC: 7E38031D
	v_mov_b32_e32 v29, v29                                     // 00000000CB00: 7E3A031D
	s_nop 1                                                    // 00000000CB04: BF800001
	v_permlane16_swap_b32_e32 v28, v29                         // 00000000CB08: 7E38B31D
	v_mov_b32_e32 v31, v28                                     // 00000000CB0C: 7E3E031C
	v_mov_b32_e32 v30, v29                                     // 00000000CB10: 7E3C031D
	s_nop 1                                                    // 00000000CB14: BF800001
	v_permlane32_swap_b32_e32 v28, v29                         // 00000000CB18: 7E38B51D
	v_permlane32_swap_b32_e32 v30, v31                         // 00000000CB1C: 7E3CB51F
	v_max3_f32 v29, v28, v29, v29                              // 00000000CB20: D1D3001D 04763B1C
	v_max3_f32 v29, v30, v31, v29                              // 00000000CB28: D1D3001D 04763F1E
	v_mov_b32_e32 v28, 0xff800000                              // 00000000CB30: 7E3802FF FF800000
	v_cmp_eq_u32_e64 s[36:37], v28, v2                         // 00000000CB38: D0CA0024 0002051C
	v_max_f32_e32 v29, v29, v2                                 // 00000000CB40: 163A051D
	v_sub_f32_e32 v16, v2, v29                                 // 00000000CB44: 04203B02
	v_cndmask_b32_e64 v16, v16, 0, s[36:37]                    // 00000000CB48: D1000010 00910110
	v_mov_b32_e32 v2, v29                                      // 00000000CB50: 7E04031D
	v_mul_f32_e32 v29, s5, v29                                 // 00000000CB54: 0A3A3A05
	v_mul_f32_e32 v16, s5, v16                                 // 00000000CB58: 0A202005
	v_exp_f32_e32 v16, v16                                     // 00000000CB5C: 7E204110
	v_fma_f32 v34, v34, s5, -v29                               // 00000000CB60: D1CB0022 84740B22
	v_fma_f32 v35, v35, s5, -v29                               // 00000000CB68: D1CB0023 84740B23
	v_fma_f32 v36, v36, s5, -v29                               // 00000000CB70: D1CB0024 84740B24
	v_fma_f32 v37, v37, s5, -v29                               // 00000000CB78: D1CB0025 84740B25
	v_fma_f32 v38, v38, s5, -v29                               // 00000000CB80: D1CB0026 84740B26
	v_fma_f32 v39, v39, s5, -v29                               // 00000000CB88: D1CB0027 84740B27
	v_fma_f32 v40, v40, s5, -v29                               // 00000000CB90: D1CB0028 84740B28
	v_fma_f32 v41, v41, s5, -v29                               // 00000000CB98: D1CB0029 84740B29
	v_exp_f32_e32 v34, v34                                     // 00000000CBA0: 7E444122
	v_exp_f32_e32 v35, v35                                     // 00000000CBA4: 7E464123
	v_exp_f32_e32 v36, v36                                     // 00000000CBA8: 7E484124
	v_exp_f32_e32 v37, v37                                     // 00000000CBAC: 7E4A4125
	v_exp_f32_e32 v38, v38                                     // 00000000CBB0: 7E4C4126
	v_exp_f32_e32 v39, v39                                     // 00000000CBB4: 7E4E4127
	v_exp_f32_e32 v40, v40                                     // 00000000CBB8: 7E504128
	v_exp_f32_e32 v41, v41                                     // 00000000CBBC: 7E524129
	v_mul_f32_e32 v4, v16, v4                                  // 00000000CBC0: 0A080910
	v_mov_b32_e32 v28, v34                                     // 00000000CBC4: 7E380322
	v_add_f32_e32 v28, v35, v28                                // 00000000CBC8: 02383923
	v_add_f32_e32 v28, v36, v28                                // 00000000CBCC: 02383924
	v_add_f32_e32 v28, v37, v28                                // 00000000CBD0: 02383925
	v_add_f32_e32 v28, v38, v28                                // 00000000CBD4: 02383926
	v_add_f32_e32 v28, v39, v28                                // 00000000CBD8: 02383927
	v_add_f32_e32 v28, v40, v28                                // 00000000CBDC: 02383928
	v_add_f32_e32 v28, v41, v28                                // 00000000CBE0: 02383929
	v_add_f32_e32 v4, v28, v4                                  // 00000000CBE4: 0208091C
	v_cvt_pk_bf16_f32 v34, v34, v35                            // 00000000CBE8: D2680022 00024722
	v_cvt_pk_bf16_f32 v35, v36, v37                            // 00000000CBF0: D2680023 00024B24
	v_cvt_pk_bf16_f32 v36, v38, v39                            // 00000000CBF8: D2680024 00024F26
	v_cvt_pk_bf16_f32 v37, v40, v41                            // 00000000CC00: D2680025 00025328
	s_nop 0                                                    // 00000000CC08: BF800000
	v_permlane32_swap_b32_e32 v34, v36                         // 00000000CC0C: 7E44B524
	v_permlane32_swap_b32_e32 v35, v37                         // 00000000CC10: 7E46B525
	s_nop 0                                                    // 00000000CC14: BF800000
	v_permlane16_swap_b32_e32 v34, v36                         // 00000000CC18: 7E44B324
	v_permlane16_swap_b32_e32 v35, v37                         // 00000000CC1C: 7E46B325
	v_mov_b32_e32 v30, v16                                     // 00000000CC20: 7E3C0310
	v_mov_b32_e32 v31, v16                                     // 00000000CC24: 7E3E0310
	v_pk_mul_f32 v[50:51], v[30:31], v[50:51]                  // 00000000CC28: D3B14032 1802651E
	v_pk_mul_f32 v[52:53], v[30:31], v[52:53]                  // 00000000CC30: D3B14034 1802691E
	v_pk_mul_f32 v[54:55], v[30:31], v[54:55]                  // 00000000CC38: D3B14036 18026D1E
	v_pk_mul_f32 v[56:57], v[30:31], v[56:57]                  // 00000000CC40: D3B14038 1802711E
	v_pk_mul_f32 v[58:59], v[30:31], v[58:59]                  // 00000000CC48: D3B1403A 1802751E
	v_pk_mul_f32 v[60:61], v[30:31], v[60:61]                  // 00000000CC50: D3B1403C 1802791E
	v_pk_mul_f32 v[62:63], v[30:31], v[62:63]                  // 00000000CC58: D3B1403E 18027D1E
	v_pk_mul_f32 v[64:65], v[30:31], v[64:65]                  // 00000000CC60: D3B14040 1802811E
	v_pk_mul_f32 v[66:67], v[30:31], v[66:67]                  // 00000000CC68: D3B14042 1802851E
	v_pk_mul_f32 v[68:69], v[30:31], v[68:69]                  // 00000000CC70: D3B14044 1802891E
	v_pk_mul_f32 v[70:71], v[30:31], v[70:71]                  // 00000000CC78: D3B14046 18028D1E
	v_pk_mul_f32 v[72:73], v[30:31], v[72:73]                  // 00000000CC80: D3B14048 1802911E
	v_pk_mul_f32 v[74:75], v[30:31], v[74:75]                  // 00000000CC88: D3B1404A 1802951E
	v_pk_mul_f32 v[76:77], v[30:31], v[76:77]                  // 00000000CC90: D3B1404C 1802991E
	v_pk_mul_f32 v[78:79], v[30:31], v[78:79]                  // 00000000CC98: D3B1404E 18029D1E
	v_pk_mul_f32 v[80:81], v[30:31], v[80:81]                  // 00000000CCA0: D3B14050 1802A11E
	v_pk_mul_f32 v[82:83], v[30:31], v[82:83]                  // 00000000CCA8: D3B14052 1802A51E
	v_pk_mul_f32 v[84:85], v[30:31], v[84:85]                  // 00000000CCB0: D3B14054 1802A91E
	v_pk_mul_f32 v[86:87], v[30:31], v[86:87]                  // 00000000CCB8: D3B14056 1802AD1E
	v_pk_mul_f32 v[88:89], v[30:31], v[88:89]                  // 00000000CCC0: D3B14058 1802B11E
	v_pk_mul_f32 v[90:91], v[30:31], v[90:91]                  // 00000000CCC8: D3B1405A 1802B51E
	v_pk_mul_f32 v[92:93], v[30:31], v[92:93]                  // 00000000CCD0: D3B1405C 1802B91E
	v_pk_mul_f32 v[94:95], v[30:31], v[94:95]                  // 00000000CCD8: D3B1405E 1802BD1E
	v_pk_mul_f32 v[96:97], v[30:31], v[96:97]                  // 00000000CCE0: D3B14060 1802C11E
	v_pk_mul_f32 v[98:99], v[30:31], v[98:99]                  // 00000000CCE8: D3B14062 1802C51E
	v_pk_mul_f32 v[100:101], v[30:31], v[100:101]              // 00000000CCF0: D3B14064 1802C91E
	v_pk_mul_f32 v[102:103], v[30:31], v[102:103]              // 00000000CCF8: D3B14066 1802CD1E
	v_pk_mul_f32 v[104:105], v[30:31], v[104:105]              // 00000000CD00: D3B14068 1802D11E
	v_pk_mul_f32 v[106:107], v[30:31], v[106:107]              // 00000000CD08: D3B1406A 1802D51E
	v_pk_mul_f32 v[108:109], v[30:31], v[108:109]              // 00000000CD10: D3B1406C 1802D91E
	v_pk_mul_f32 v[110:111], v[30:31], v[110:111]              // 00000000CD18: D3B1406E 1802DD1E
	v_pk_mul_f32 v[112:113], v[30:31], v[112:113]              // 00000000CD20: D3B14070 1802E11E
	v_pk_mul_f32 v[114:115], v[30:31], v[114:115]              // 00000000CD28: D3B14072 1802E51E
	v_pk_mul_f32 v[116:117], v[30:31], v[116:117]              // 00000000CD30: D3B14074 1802E91E
	v_pk_mul_f32 v[118:119], v[30:31], v[118:119]              // 00000000CD38: D3B14076 1802ED1E
	v_pk_mul_f32 v[120:121], v[30:31], v[120:121]              // 00000000CD40: D3B14078 1802F11E
	v_pk_mul_f32 v[122:123], v[30:31], v[122:123]              // 00000000CD48: D3B1407A 1802F51E
	v_pk_mul_f32 v[124:125], v[30:31], v[124:125]              // 00000000CD50: D3B1407C 1802F91E
	v_pk_mul_f32 v[126:127], v[30:31], v[126:127]              // 00000000CD58: D3B1407E 1802FD1E
	v_pk_mul_f32 v[128:129], v[30:31], v[128:129]              // 00000000CD60: D3B14080 1803011E
	v_pk_mul_f32 v[130:131], v[30:31], v[130:131]              // 00000000CD68: D3B14082 1803051E
	v_pk_mul_f32 v[132:133], v[30:31], v[132:133]              // 00000000CD70: D3B14084 1803091E
	v_pk_mul_f32 v[134:135], v[30:31], v[134:135]              // 00000000CD78: D3B14086 18030D1E
	v_pk_mul_f32 v[136:137], v[30:31], v[136:137]              // 00000000CD80: D3B14088 1803111E
	v_pk_mul_f32 v[138:139], v[30:31], v[138:139]              // 00000000CD88: D3B1408A 1803151E
	v_pk_mul_f32 v[140:141], v[30:31], v[140:141]              // 00000000CD90: D3B1408C 1803191E
	v_pk_mul_f32 v[142:143], v[30:31], v[142:143]              // 00000000CD98: D3B1408E 18031D1E
	v_pk_mul_f32 v[144:145], v[30:31], v[144:145]              // 00000000CDA0: D3B14090 1803211E
	v_pk_mul_f32 v[146:147], v[30:31], v[146:147]              // 00000000CDA8: D3B14092 1803251E
	v_pk_mul_f32 v[148:149], v[30:31], v[148:149]              // 00000000CDB0: D3B14094 1803291E
	v_pk_mul_f32 v[150:151], v[30:31], v[150:151]              // 00000000CDB8: D3B14096 18032D1E
	v_pk_mul_f32 v[152:153], v[30:31], v[152:153]              // 00000000CDC0: D3B14098 1803311E
	v_pk_mul_f32 v[154:155], v[30:31], v[154:155]              // 00000000CDC8: D3B1409A 1803351E
	v_pk_mul_f32 v[156:157], v[30:31], v[156:157]              // 00000000CDD0: D3B1409C 1803391E
	v_pk_mul_f32 v[158:159], v[30:31], v[158:159]              // 00000000CDD8: D3B1409E 18033D1E
	v_pk_mul_f32 v[160:161], v[30:31], v[160:161]              // 00000000CDE0: D3B140A0 1803411E
	v_pk_mul_f32 v[162:163], v[30:31], v[162:163]              // 00000000CDE8: D3B140A2 1803451E
	v_pk_mul_f32 v[164:165], v[30:31], v[164:165]              // 00000000CDF0: D3B140A4 1803491E
	v_pk_mul_f32 v[166:167], v[30:31], v[166:167]              // 00000000CDF8: D3B140A6 18034D1E
	v_pk_mul_f32 v[168:169], v[30:31], v[168:169]              // 00000000CE00: D3B140A8 1803511E
	v_pk_mul_f32 v[170:171], v[30:31], v[170:171]              // 00000000CE08: D3B140AA 1803551E
	v_pk_mul_f32 v[172:173], v[30:31], v[172:173]              // 00000000CE10: D3B140AC 1803591E
	v_pk_mul_f32 v[174:175], v[30:31], v[174:175]              // 00000000CE18: D3B140AE 18035D1E
	v_pk_mul_f32 v[176:177], v[30:31], v[176:177]              // 00000000CE20: D3B140B0 1803611E
	s_waitcnt lgkmcnt(0)                                       // 00000000CE28: BF8CC07F
	v_mfma_f32_16x16x32_bf16 v[50:53], a[144:147], v[34:37], v[50:53]// 00000000CE2C: D3B50032 0CCA4590
	v_mfma_f32_16x16x32_bf16 v[54:57], a[148:151], v[34:37], v[54:57]// 00000000CE34: D3B50036 0CDA4594
	v_mfma_f32_16x16x32_bf16 v[58:61], a[152:155], v[34:37], v[58:61]// 00000000CE3C: D3B5003A 0CEA4598
	v_mfma_f32_16x16x32_bf16 v[62:65], a[156:159], v[34:37], v[62:65]// 00000000CE44: D3B5003E 0CFA459C
	v_mfma_f32_16x16x32_bf16 v[66:69], a[160:163], v[34:37], v[66:69]// 00000000CE4C: D3B50042 0D0A45A0
	v_mfma_f32_16x16x32_bf16 v[70:73], a[164:167], v[34:37], v[70:73]// 00000000CE54: D3B50046 0D1A45A4
	v_mfma_f32_16x16x32_bf16 v[74:77], a[168:171], v[34:37], v[74:77]// 00000000CE5C: D3B5004A 0D2A45A8
	v_mfma_f32_16x16x32_bf16 v[78:81], a[172:175], v[34:37], v[78:81]// 00000000CE64: D3B5004E 0D3A45AC
	v_mfma_f32_16x16x32_bf16 v[82:85], a[176:179], v[34:37], v[82:85]// 00000000CE6C: D3B50052 0D4A45B0
	v_mfma_f32_16x16x32_bf16 v[86:89], a[180:183], v[34:37], v[86:89]// 00000000CE74: D3B50056 0D5A45B4
	v_mfma_f32_16x16x32_bf16 v[90:93], a[184:187], v[34:37], v[90:93]// 00000000CE7C: D3B5005A 0D6A45B8
	ds_read_b64_tr_b16 a[144:145], v12 offset:8192             // 00000000CE84: DBC62000 9000000C
	ds_read_b64_tr_b16 a[146:147], v12 offset:8448             // 00000000CE8C: DBC62100 9200000C
	ds_read_b64_tr_b16 a[148:149], v13 offset:8192             // 00000000CE94: DBC62000 9400000D
	ds_read_b64_tr_b16 a[150:151], v13 offset:8448             // 00000000CE9C: DBC62100 9600000D
	v_mfma_f32_16x16x32_bf16 v[94:97], a[188:191], v[34:37], v[94:97]// 00000000CEA4: D3B5005E 0D7A45BC
	ds_read_b64_tr_b16 a[152:153], v12 offset:9216             // 00000000CEAC: DBC62400 9800000C
	ds_read_b64_tr_b16 a[154:155], v12 offset:9472             // 00000000CEB4: DBC62500 9A00000C
	ds_read_b64_tr_b16 a[156:157], v13 offset:9216             // 00000000CEBC: DBC62400 9C00000D
	ds_read_b64_tr_b16 a[158:159], v13 offset:9472             // 00000000CEC4: DBC62500 9E00000D
	v_mfma_f32_16x16x32_bf16 v[98:101], a[192:195], v[34:37], v[98:101]// 00000000CECC: D3B50062 0D8A45C0
	ds_read_b64_tr_b16 a[160:161], v12 offset:10240            // 00000000CED4: DBC62800 A000000C
	ds_read_b64_tr_b16 a[162:163], v12 offset:10496            // 00000000CEDC: DBC62900 A200000C
	ds_read_b64_tr_b16 a[164:165], v13 offset:10240            // 00000000CEE4: DBC62800 A400000D
	ds_read_b64_tr_b16 a[166:167], v13 offset:10496            // 00000000CEEC: DBC62900 A600000D
	v_mfma_f32_16x16x32_bf16 v[102:105], a[196:199], v[34:37], v[102:105]// 00000000CEF4: D3B50066 0D9A45C4
	ds_read_b64_tr_b16 a[168:169], v12 offset:11264            // 00000000CEFC: DBC62C00 A800000C
	ds_read_b64_tr_b16 a[170:171], v12 offset:11520            // 00000000CF04: DBC62D00 AA00000C
	ds_read_b64_tr_b16 a[172:173], v13 offset:11264            // 00000000CF0C: DBC62C00 AC00000D
	ds_read_b64_tr_b16 a[174:175], v13 offset:11520            // 00000000CF14: DBC62D00 AE00000D
	v_mfma_f32_16x16x32_bf16 v[106:109], a[200:203], v[34:37], v[106:109]// 00000000CF1C: D3B5006A 0DAA45C8
	ds_read_b64_tr_b16 a[176:177], v12 offset:12288            // 00000000CF24: DBC63000 B000000C
	ds_read_b64_tr_b16 a[178:179], v12 offset:12544            // 00000000CF2C: DBC63100 B200000C
	ds_read_b64_tr_b16 a[180:181], v13 offset:12288            // 00000000CF34: DBC63000 B400000D
	ds_read_b64_tr_b16 a[182:183], v13 offset:12544            // 00000000CF3C: DBC63100 B600000D
	v_mfma_f32_16x16x32_bf16 v[110:113], a[204:207], v[34:37], v[110:113]// 00000000CF44: D3B5006E 0DBA45CC
	ds_read_b64_tr_b16 a[184:185], v12 offset:13312            // 00000000CF4C: DBC63400 B800000C
	ds_read_b64_tr_b16 a[186:187], v12 offset:13568            // 00000000CF54: DBC63500 BA00000C
	ds_read_b64_tr_b16 a[188:189], v13 offset:13312            // 00000000CF5C: DBC63400 BC00000D
	ds_read_b64_tr_b16 a[190:191], v13 offset:13568            // 00000000CF64: DBC63500 BE00000D
	ds_read_b64_tr_b16 a[192:193], v12 offset:14336            // 00000000CF6C: DBC63800 C000000C
	ds_read_b64_tr_b16 a[194:195], v12 offset:14592            // 00000000CF74: DBC63900 C200000C
	ds_read_b64_tr_b16 a[196:197], v13 offset:14336            // 00000000CF7C: DBC63800 C400000D
	ds_read_b64_tr_b16 a[198:199], v13 offset:14592            // 00000000CF84: DBC63900 C600000D
	ds_read_b64_tr_b16 a[200:201], v12 offset:15360            // 00000000CF8C: DBC63C00 C800000C
	ds_read_b64_tr_b16 a[202:203], v12 offset:15616            // 00000000CF94: DBC63D00 CA00000C
	ds_read_b64_tr_b16 a[204:205], v13 offset:15360            // 00000000CF9C: DBC63C00 CC00000D
	ds_read_b64_tr_b16 a[206:207], v13 offset:15616            // 00000000CFA4: DBC63D00 CE00000D
	s_waitcnt lgkmcnt(0)                                       // 00000000CFAC: BF8CC07F
	v_mfma_f32_16x16x32_bf16 v[114:117], a[144:147], v[34:37], v[114:117]// 00000000CFB0: D3B50072 0DCA4590
	v_mfma_f32_16x16x32_bf16 v[118:121], a[148:151], v[34:37], v[118:121]// 00000000CFB8: D3B50076 0DDA4594
	v_mfma_f32_16x16x32_bf16 v[122:125], a[152:155], v[34:37], v[122:125]// 00000000CFC0: D3B5007A 0DEA4598
	v_mfma_f32_16x16x32_bf16 v[126:129], a[156:159], v[34:37], v[126:129]// 00000000CFC8: D3B5007E 0DFA459C
	v_mfma_f32_16x16x32_bf16 v[130:133], a[160:163], v[34:37], v[130:133]// 00000000CFD0: D3B50082 0E0A45A0
	v_mfma_f32_16x16x32_bf16 v[134:137], a[164:167], v[34:37], v[134:137]// 00000000CFD8: D3B50086 0E1A45A4
	v_mfma_f32_16x16x32_bf16 v[138:141], a[168:171], v[34:37], v[138:141]// 00000000CFE0: D3B5008A 0E2A45A8
	v_mfma_f32_16x16x32_bf16 v[142:145], a[172:175], v[34:37], v[142:145]// 00000000CFE8: D3B5008E 0E3A45AC
	v_mfma_f32_16x16x32_bf16 v[146:149], a[176:179], v[34:37], v[146:149]// 00000000CFF0: D3B50092 0E4A45B0
	v_mfma_f32_16x16x32_bf16 v[150:153], a[180:183], v[34:37], v[150:153]// 00000000CFF8: D3B50096 0E5A45B4
	v_mfma_f32_16x16x32_bf16 v[154:157], a[184:187], v[34:37], v[154:157]// 00000000D000: D3B5009A 0E6A45B8
	v_mfma_f32_16x16x32_bf16 v[158:161], a[188:191], v[34:37], v[158:161]// 00000000D008: D3B5009E 0E7A45BC
	v_mfma_f32_16x16x32_bf16 v[162:165], a[192:195], v[34:37], v[162:165]// 00000000D010: D3B500A2 0E8A45C0
	v_mfma_f32_16x16x32_bf16 v[166:169], a[196:199], v[34:37], v[166:169]// 00000000D018: D3B500A6 0E9A45C4
	v_mfma_f32_16x16x32_bf16 v[170:173], a[200:203], v[34:37], v[170:173]// 00000000D020: D3B500AA 0EAA45C8
	v_mfma_f32_16x16x32_bf16 v[174:177], a[204:207], v[34:37], v[174:177]// 00000000D028: D3B500AE 0EBA45CC
	s_nop 8                                                    // 00000000D030: BF800008
	s_branch label_B75C                                        // 00000000D034: BF820287

000000000000d038 <label_AB38>:
	s_waitcnt lgkmcnt(0)                                       // 00000000D038: BF8CC07F
	v_mfma_f32_16x16x32_bf16 v[42:45], a[72:75], a[0:3], 0     // 00000000D03C: D3B5002A 1A020148
	v_mfma_f32_16x16x32_bf16 v[42:45], a[76:79], a[4:7], v[42:45]// 00000000D044: D3B5002A 1CAA094C
	v_mfma_f32_16x16x32_bf16 v[42:45], a[80:83], a[8:11], v[42:45]// 00000000D04C: D3B5002A 1CAA1150
	v_mfma_f32_16x16x32_bf16 v[42:45], a[84:87], a[12:15], v[42:45]// 00000000D054: D3B5002A 1CAA1954
	v_mfma_f32_16x16x32_bf16 v[42:45], a[88:91], a[16:19], v[42:45]// 00000000D05C: D3B5002A 1CAA2158
	v_mfma_f32_16x16x32_bf16 v[42:45], a[92:95], a[20:23], v[42:45]// 00000000D064: D3B5002A 1CAA295C
	v_mfma_f32_16x16x32_bf16 v[42:45], a[96:99], a[24:27], v[42:45]// 00000000D06C: D3B5002A 1CAA3160
	v_mfma_f32_16x16x32_bf16 v[42:45], a[100:103], a[28:31], v[42:45]// 00000000D074: D3B5002A 1CAA3964
	ds_read_b128 a[72:75], v21 offset:18432                    // 00000000D07C: DBFE4800 48000015
	ds_read_b128 a[76:79], v21 offset:19456                    // 00000000D084: DBFE4C00 4C000015
	v_mfma_f32_16x16x32_bf16 v[42:45], a[104:107], a[32:35], v[42:45]// 00000000D08C: D3B5002A 1CAA4168
	v_mfma_f32_16x16x32_bf16 v[42:45], a[108:111], a[36:39], v[42:45]// 00000000D094: D3B5002A 1CAA496C
	ds_read_b128 a[80:83], v21 offset:20480                    // 00000000D09C: DBFE5000 50000015
	ds_read_b128 a[84:87], v21 offset:21504                    // 00000000D0A4: DBFE5400 54000015
	v_mfma_f32_16x16x32_bf16 v[42:45], a[112:115], a[40:43], v[42:45]// 00000000D0AC: D3B5002A 1CAA5170
	v_mfma_f32_16x16x32_bf16 v[42:45], a[116:119], a[44:47], v[42:45]// 00000000D0B4: D3B5002A 1CAA5974
	ds_read_b128 a[88:91], v21 offset:22528                    // 00000000D0BC: DBFE5800 58000015
	ds_read_b128 a[92:95], v21 offset:23552                    // 00000000D0C4: DBFE5C00 5C000015
	v_mfma_f32_16x16x32_bf16 v[42:45], a[120:123], a[48:51], v[42:45]// 00000000D0CC: D3B5002A 1CAA6178
	v_mfma_f32_16x16x32_bf16 v[42:45], a[124:127], a[52:55], v[42:45]// 00000000D0D4: D3B5002A 1CAA697C
	ds_read_b128 a[96:99], v21 offset:24576                    // 00000000D0DC: DBFE6000 60000015
	ds_read_b128 a[100:103], v21 offset:25600                  // 00000000D0E4: DBFE6400 64000015
	v_mfma_f32_16x16x32_bf16 v[42:45], a[128:131], a[56:59], v[42:45]// 00000000D0EC: D3B5002A 1CAA7180
	v_mfma_f32_16x16x32_bf16 v[42:45], a[132:135], a[60:63], v[42:45]// 00000000D0F4: D3B5002A 1CAA7984
	ds_read_b128 a[104:107], v21 offset:26624                  // 00000000D0FC: DBFE6800 68000015
	ds_read_b128 a[108:111], v21 offset:27648                  // 00000000D104: DBFE6C00 6C000015
	v_mfma_f32_16x16x32_bf16 v[42:45], a[136:139], a[64:67], v[42:45]// 00000000D10C: D3B5002A 1CAA8188
	v_mfma_f32_16x16x32_bf16 v[42:45], a[140:143], a[68:71], v[42:45]// 00000000D114: D3B5002A 1CAA898C
	ds_read_b128 a[112:115], v21 offset:28672                  // 00000000D11C: DBFE7000 70000015
	ds_read_b128 a[116:119], v21 offset:29696                  // 00000000D124: DBFE7400 74000015
	ds_read_b128 a[120:123], v21 offset:30720                  // 00000000D12C: DBFE7800 78000015
	ds_read_b128 a[124:127], v21 offset:31744                  // 00000000D134: DBFE7C00 7C000015
	ds_read_b128 a[128:131], v21 offset:32768                  // 00000000D13C: DBFE8000 80000015
	ds_read_b128 a[132:135], v21 offset:33792                  // 00000000D144: DBFE8400 84000015
	ds_read_b128 a[136:139], v21 offset:34816                  // 00000000D14C: DBFE8800 88000015
	ds_read_b128 a[140:143], v21 offset:35840                  // 00000000D154: DBFE8C00 8C000015
	s_waitcnt lgkmcnt(0)                                       // 00000000D15C: BF8CC07F
	v_mfma_f32_16x16x32_bf16 v[46:49], a[72:75], a[0:3], 0     // 00000000D160: D3B5002E 1A020148
	ds_read_b64_tr_b16 a[144:145], v14                         // 00000000D168: DBC60000 9000000E
	ds_read_b64_tr_b16 a[146:147], v14 offset:256              // 00000000D170: DBC60100 9200000E
	ds_read_b64_tr_b16 a[148:149], v15                         // 00000000D178: DBC60000 9400000F
	ds_read_b64_tr_b16 a[150:151], v15 offset:256              // 00000000D180: DBC60100 9600000F
	v_mfma_f32_16x16x32_bf16 v[46:49], a[76:79], a[4:7], v[46:49]// 00000000D188: D3B5002E 1CBA094C
	ds_read_b64_tr_b16 a[152:153], v14 offset:1024             // 00000000D190: DBC60400 9800000E
	ds_read_b64_tr_b16 a[154:155], v14 offset:1280             // 00000000D198: DBC60500 9A00000E
	ds_read_b64_tr_b16 a[156:157], v15 offset:1024             // 00000000D1A0: DBC60400 9C00000F
	ds_read_b64_tr_b16 a[158:159], v15 offset:1280             // 00000000D1A8: DBC60500 9E00000F
	v_mfma_f32_16x16x32_bf16 v[46:49], a[80:83], a[8:11], v[46:49]// 00000000D1B0: D3B5002E 1CBA1150
	ds_read_b64_tr_b16 a[160:161], v14 offset:2048             // 00000000D1B8: DBC60800 A000000E
	ds_read_b64_tr_b16 a[162:163], v14 offset:2304             // 00000000D1C0: DBC60900 A200000E
	ds_read_b64_tr_b16 a[164:165], v15 offset:2048             // 00000000D1C8: DBC60800 A400000F
	ds_read_b64_tr_b16 a[166:167], v15 offset:2304             // 00000000D1D0: DBC60900 A600000F
	v_mfma_f32_16x16x32_bf16 v[46:49], a[84:87], a[12:15], v[46:49]// 00000000D1D8: D3B5002E 1CBA1954
	ds_read_b64_tr_b16 a[168:169], v14 offset:3072             // 00000000D1E0: DBC60C00 A800000E
	ds_read_b64_tr_b16 a[170:171], v14 offset:3328             // 00000000D1E8: DBC60D00 AA00000E
	ds_read_b64_tr_b16 a[172:173], v15 offset:3072             // 00000000D1F0: DBC60C00 AC00000F
	ds_read_b64_tr_b16 a[174:175], v15 offset:3328             // 00000000D1F8: DBC60D00 AE00000F
	v_mfma_f32_16x16x32_bf16 v[46:49], a[88:91], a[16:19], v[46:49]// 00000000D200: D3B5002E 1CBA2158
	ds_read_b64_tr_b16 a[176:177], v14 offset:4096             // 00000000D208: DBC61000 B000000E
	ds_read_b64_tr_b16 a[178:179], v14 offset:4352             // 00000000D210: DBC61100 B200000E
	ds_read_b64_tr_b16 a[180:181], v15 offset:4096             // 00000000D218: DBC61000 B400000F
	ds_read_b64_tr_b16 a[182:183], v15 offset:4352             // 00000000D220: DBC61100 B600000F
	v_mfma_f32_16x16x32_bf16 v[46:49], a[92:95], a[20:23], v[46:49]// 00000000D228: D3B5002E 1CBA295C
	ds_read_b64_tr_b16 a[184:185], v14 offset:5120             // 00000000D230: DBC61400 B800000E
	ds_read_b64_tr_b16 a[186:187], v14 offset:5376             // 00000000D238: DBC61500 BA00000E
	ds_read_b64_tr_b16 a[188:189], v15 offset:5120             // 00000000D240: DBC61400 BC00000F
	ds_read_b64_tr_b16 a[190:191], v15 offset:5376             // 00000000D248: DBC61500 BE00000F
	v_mfma_f32_16x16x32_bf16 v[46:49], a[96:99], a[24:27], v[46:49]// 00000000D250: D3B5002E 1CBA3160
	ds_read_b64_tr_b16 a[192:193], v14 offset:6144             // 00000000D258: DBC61800 C000000E
	ds_read_b64_tr_b16 a[194:195], v14 offset:6400             // 00000000D260: DBC61900 C200000E
	ds_read_b64_tr_b16 a[196:197], v15 offset:6144             // 00000000D268: DBC61800 C400000F
	ds_read_b64_tr_b16 a[198:199], v15 offset:6400             // 00000000D270: DBC61900 C600000F
	v_mfma_f32_16x16x32_bf16 v[46:49], a[100:103], a[28:31], v[46:49]// 00000000D278: D3B5002E 1CBA3964
	ds_read_b64_tr_b16 a[200:201], v14 offset:7168             // 00000000D280: DBC61C00 C800000E
	ds_read_b64_tr_b16 a[202:203], v14 offset:7424             // 00000000D288: DBC61D00 CA00000E
	ds_read_b64_tr_b16 a[204:205], v15 offset:7168             // 00000000D290: DBC61C00 CC00000F
	ds_read_b64_tr_b16 a[206:207], v15 offset:7424             // 00000000D298: DBC61D00 CE00000F
	v_mfma_f32_16x16x32_bf16 v[46:49], a[104:107], a[32:35], v[46:49]// 00000000D2A0: D3B5002E 1CBA4168
	v_mfma_f32_16x16x32_bf16 v[46:49], a[108:111], a[36:39], v[46:49]// 00000000D2A8: D3B5002E 1CBA496C
	v_mfma_f32_16x16x32_bf16 v[46:49], a[112:115], a[40:43], v[46:49]// 00000000D2B0: D3B5002E 1CBA5170
	v_mfma_f32_16x16x32_bf16 v[46:49], a[116:119], a[44:47], v[46:49]// 00000000D2B8: D3B5002E 1CBA5974
	v_mfma_f32_16x16x32_bf16 v[46:49], a[120:123], a[48:51], v[46:49]// 00000000D2C0: D3B5002E 1CBA6178
	v_mfma_f32_16x16x32_bf16 v[46:49], a[124:127], a[52:55], v[46:49]// 00000000D2C8: D3B5002E 1CBA697C
	v_mfma_f32_16x16x32_bf16 v[46:49], a[128:131], a[56:59], v[46:49]// 00000000D2D0: D3B5002E 1CBA7180
	v_mfma_f32_16x16x32_bf16 v[46:49], a[132:135], a[60:63], v[46:49]// 00000000D2D8: D3B5002E 1CBA7984
	v_mfma_f32_16x16x32_bf16 v[46:49], a[136:139], a[64:67], v[46:49]// 00000000D2E0: D3B5002E 1CBA8188
	v_mfma_f32_16x16x32_bf16 v[46:49], a[140:143], a[68:71], v[46:49]// 00000000D2E8: D3B5002E 1CBA898C
	s_nop 8                                                    // 00000000D2F0: BF800008
	s_and_b32 s56, s48, 0xff                                   // 00000000D2F4: 8638FF30 000000FF
	v_mov_b32_e32 v29, s56                                     // 00000000D2FC: 7E3A0238
	v_lshrrev_b32_e32 v18, 4, v0                               // 00000000D300: 20240084
	v_mul_i32_i24_e32 v18, 4, v18                              // 00000000D304: 0C242484
	v_add_u32_e32 v19, 1, v18                                  // 00000000D308: 68262481
	v_add_u32_e32 v20, 2, v18                                  // 00000000D30C: 68282482
	v_add_u32_e32 v21, 3, v18                                  // 00000000D310: 682A2483
	v_mov_b32_e32 v28, 0xff800000                              // 00000000D314: 7E3802FF FF800000
	v_cmp_lt_u32_e64 s[36:37], v18, v29                        // 00000000D31C: D0C90024 00023B12
	v_add_u32_e32 v18, 16, v18                                 // 00000000D324: 68242490
	s_nop 0                                                    // 00000000D328: BF800000
	v_cndmask_b32_e64 v42, v28, v42, s[36:37]                  // 00000000D32C: D100002A 0092551C
	v_cmp_lt_u32_e64 s[36:37], v19, v29                        // 00000000D334: D0C90024 00023B13
	v_add_u32_e32 v19, 16, v19                                 // 00000000D33C: 68262690
	s_nop 0                                                    // 00000000D340: BF800000
	v_cndmask_b32_e64 v43, v28, v43, s[36:37]                  // 00000000D344: D100002B 0092571C
	v_cmp_lt_u32_e64 s[36:37], v20, v29                        // 00000000D34C: D0C90024 00023B14
	v_add_u32_e32 v20, 16, v20                                 // 00000000D354: 68282890
	s_nop 0                                                    // 00000000D358: BF800000
	v_cndmask_b32_e64 v44, v28, v44, s[36:37]                  // 00000000D35C: D100002C 0092591C
	v_cmp_lt_u32_e64 s[36:37], v21, v29                        // 00000000D364: D0C90024 00023B15
	v_add_u32_e32 v21, 16, v21                                 // 00000000D36C: 682A2A90
	s_nop 0                                                    // 00000000D370: BF800000
	v_cndmask_b32_e64 v45, v28, v45, s[36:37]                  // 00000000D374: D100002D 00925B1C
	v_cmp_lt_u32_e64 s[36:37], v18, v29                        // 00000000D37C: D0C90024 00023B12
	v_add_u32_e32 v18, 16, v18                                 // 00000000D384: 68242490
	s_nop 0                                                    // 00000000D388: BF800000
	v_cndmask_b32_e64 v46, v28, v46, s[36:37]                  // 00000000D38C: D100002E 00925D1C
	v_cmp_lt_u32_e64 s[36:37], v19, v29                        // 00000000D394: D0C90024 00023B13
	v_add_u32_e32 v19, 16, v19                                 // 00000000D39C: 68262690
	s_nop 0                                                    // 00000000D3A0: BF800000
	v_cndmask_b32_e64 v47, v28, v47, s[36:37]                  // 00000000D3A4: D100002F 00925F1C
	v_cmp_lt_u32_e64 s[36:37], v20, v29                        // 00000000D3AC: D0C90024 00023B14
	v_add_u32_e32 v20, 16, v20                                 // 00000000D3B4: 68282890
	s_nop 0                                                    // 00000000D3B8: BF800000
	v_cndmask_b32_e64 v48, v28, v48, s[36:37]                  // 00000000D3BC: D1000030 0092611C
	v_cmp_lt_u32_e64 s[36:37], v21, v29                        // 00000000D3C4: D0C90024 00023B15
	v_add_u32_e32 v21, 16, v21                                 // 00000000D3CC: 682A2A90
	s_nop 0                                                    // 00000000D3D0: BF800000
	v_cndmask_b32_e64 v49, v28, v49, s[36:37]                  // 00000000D3D4: D1000031 0092631C
	s_cmp_le_i32 s83, s82                                      // 00000000D3DC: BF055253
	s_cbranch_scc1 label_AFEC                                  // 00000000D3E0: BF850042
	v_mov_b32_e32 v28, s82                                     // 00000000D3E4: 7E380252
	s_cmp_eq_i32 s81, 1                                        // 00000000D3E8: BF008151
	s_cbranch_scc1 label_AF08                                  // 00000000D3EC: BF850006
	s_cmp_eq_i32 s81, 2                                        // 00000000D3F0: BF008251
	s_cbranch_scc1 label_AF00                                  // 00000000D3F4: BF850002
	v_add_u32_e32 v28, s7, v28                                 // 00000000D3F8: 68383807
	s_branch label_AF08                                        // 00000000D3FC: BF820002

000000000000d400 <label_AF00>:
	s_lshr_b32 s56, s7, 1                                      // 00000000D400: 8F388107
	v_add_u32_e32 v28, s56, v28                                // 00000000D404: 68383838

000000000000d408 <label_AF08>:
	s_sub_u32 s56, s83, 31                                     // 00000000D408: 80B89F53
	v_lshrrev_b32_e32 v18, 4, v0                               // 00000000D40C: 20240084
	v_mul_i32_i24_e32 v18, 4, v18                              // 00000000D410: 0C242484
	v_add_u32_e32 v18, s56, v18                                // 00000000D414: 68242438
	v_add_u32_e32 v19, 1, v18                                  // 00000000D418: 68262481
	v_add_u32_e32 v20, 2, v18                                  // 00000000D41C: 68282482
	v_add_u32_e32 v21, 3, v18                                  // 00000000D420: 682A2483
	v_mov_b32_e32 v29, 0xff800000                              // 00000000D424: 7E3A02FF FF800000
	v_cmp_le_u32_e64 s[36:37], v18, v28                        // 00000000D42C: D0CB0024 00023912
	v_add_u32_e32 v18, 16, v18                                 // 00000000D434: 68242490
	s_nop 0                                                    // 00000000D438: BF800000
	v_cndmask_b32_e64 v42, v29, v42, s[36:37]                  // 00000000D43C: D100002A 0092551D
	v_cmp_le_u32_e64 s[36:37], v19, v28                        // 00000000D444: D0CB0024 00023913
	v_add_u32_e32 v19, 16, v19                                 // 00000000D44C: 68262690
	s_nop 0                                                    // 00000000D450: BF800000
	v_cndmask_b32_e64 v43, v29, v43, s[36:37]                  // 00000000D454: D100002B 0092571D
	v_cmp_le_u32_e64 s[36:37], v20, v28                        // 00000000D45C: D0CB0024 00023914
	v_add_u32_e32 v20, 16, v20                                 // 00000000D464: 68282890
	s_nop 0                                                    // 00000000D468: BF800000
	v_cndmask_b32_e64 v44, v29, v44, s[36:37]                  // 00000000D46C: D100002C 0092591D
	v_cmp_le_u32_e64 s[36:37], v21, v28                        // 00000000D474: D0CB0024 00023915
	v_add_u32_e32 v21, 16, v21                                 // 00000000D47C: 682A2A90
	s_nop 0                                                    // 00000000D480: BF800000
	v_cndmask_b32_e64 v45, v29, v45, s[36:37]                  // 00000000D484: D100002D 00925B1D
	v_cmp_le_u32_e64 s[36:37], v18, v28                        // 00000000D48C: D0CB0024 00023912
	v_add_u32_e32 v18, 16, v18                                 // 00000000D494: 68242490
	s_nop 0                                                    // 00000000D498: BF800000
	v_cndmask_b32_e64 v46, v29, v46, s[36:37]                  // 00000000D49C: D100002E 00925D1D
	v_cmp_le_u32_e64 s[36:37], v19, v28                        // 00000000D4A4: D0CB0024 00023913
	v_add_u32_e32 v19, 16, v19                                 // 00000000D4AC: 68262690
	s_nop 0                                                    // 00000000D4B0: BF800000
	v_cndmask_b32_e64 v47, v29, v47, s[36:37]                  // 00000000D4B4: D100002F 00925F1D
	v_cmp_le_u32_e64 s[36:37], v20, v28                        // 00000000D4BC: D0CB0024 00023914
	v_add_u32_e32 v20, 16, v20                                 // 00000000D4C4: 68282890
	s_nop 0                                                    // 00000000D4C8: BF800000
	v_cndmask_b32_e64 v48, v29, v48, s[36:37]                  // 00000000D4CC: D1000030 0092611D
	v_cmp_le_u32_e64 s[36:37], v21, v28                        // 00000000D4D4: D0CB0024 00023915
	v_add_u32_e32 v21, 16, v21                                 // 00000000D4DC: 682A2A90
	s_nop 0                                                    // 00000000D4E0: BF800000
	v_cndmask_b32_e64 v49, v29, v49, s[36:37]                  // 00000000D4E4: D1000031 0092631D

000000000000d4ec <label_AFEC>:
	s_add_u32 s83, s84, s83                                    // 00000000D4EC: 80535354
	s_nop 2                                                    // 00000000D4F0: BF800002
	v_mov_b32_e32 v29, v42                                     // 00000000D4F4: 7E3A032A
	v_max3_f32 v29, v42, v43, v29                              // 00000000D4F8: D1D3001D 0476572A
	v_max3_f32 v29, v44, v45, v29                              // 00000000D500: D1D3001D 04765B2C
	v_max3_f32 v29, v46, v47, v29                              // 00000000D508: D1D3001D 04765F2E
	v_max3_f32 v29, v48, v49, v29                              // 00000000D510: D1D3001D 04766330
	v_mov_b32_e32 v28, v29                                     // 00000000D518: 7E38031D
	v_mov_b32_e32 v29, v29                                     // 00000000D51C: 7E3A031D
	s_nop 1                                                    // 00000000D520: BF800001
	v_permlane16_swap_b32_e32 v28, v29                         // 00000000D524: 7E38B31D
	v_mov_b32_e32 v31, v28                                     // 00000000D528: 7E3E031C
	v_mov_b32_e32 v30, v29                                     // 00000000D52C: 7E3C031D
	s_nop 1                                                    // 00000000D530: BF800001
	v_permlane32_swap_b32_e32 v28, v29                         // 00000000D534: 7E38B51D
	v_permlane32_swap_b32_e32 v30, v31                         // 00000000D538: 7E3CB51F
	v_max3_f32 v29, v28, v29, v29                              // 00000000D53C: D1D3001D 04763B1C
	v_max3_f32 v29, v30, v31, v29                              // 00000000D544: D1D3001D 04763F1E
	v_mov_b32_e32 v28, 0xff800000                              // 00000000D54C: 7E3802FF FF800000
	v_cmp_eq_u32_e64 s[36:37], v28, v2                         // 00000000D554: D0CA0024 0002051C
	v_max_f32_e32 v29, v29, v2                                 // 00000000D55C: 163A051D
	v_sub_f32_e32 v16, v2, v29                                 // 00000000D560: 04203B02
	v_cndmask_b32_e64 v16, v16, 0, s[36:37]                    // 00000000D564: D1000010 00910110
	v_mov_b32_e32 v2, v29                                      // 00000000D56C: 7E04031D
	v_mul_f32_e32 v29, s5, v29                                 // 00000000D570: 0A3A3A05
	v_mul_f32_e32 v16, s5, v16                                 // 00000000D574: 0A202005
	v_exp_f32_e32 v16, v16                                     // 00000000D578: 7E204110
	v_fma_f32 v42, v42, s5, -v29                               // 00000000D57C: D1CB002A 84740B2A
	v_fma_f32 v43, v43, s5, -v29                               // 00000000D584: D1CB002B 84740B2B
	v_fma_f32 v44, v44, s5, -v29                               // 00000000D58C: D1CB002C 84740B2C
	v_fma_f32 v45, v45, s5, -v29                               // 00000000D594: D1CB002D 84740B2D
	v_fma_f32 v46, v46, s5, -v29                               // 00000000D59C: D1CB002E 84740B2E
	v_fma_f32 v47, v47, s5, -v29                               // 00000000D5A4: D1CB002F 84740B2F
	v_fma_f32 v48, v48, s5, -v29                               // 00000000D5AC: D1CB0030 84740B30
	v_fma_f32 v49, v49, s5, -v29                               // 00000000D5B4: D1CB0031 84740B31
	v_exp_f32_e32 v42, v42                                     // 00000000D5BC: 7E54412A
	v_exp_f32_e32 v43, v43                                     // 00000000D5C0: 7E56412B
	v_exp_f32_e32 v44, v44                                     // 00000000D5C4: 7E58412C
	v_exp_f32_e32 v45, v45                                     // 00000000D5C8: 7E5A412D
	v_exp_f32_e32 v46, v46                                     // 00000000D5CC: 7E5C412E
	v_exp_f32_e32 v47, v47                                     // 00000000D5D0: 7E5E412F
	v_exp_f32_e32 v48, v48                                     // 00000000D5D4: 7E604130
	v_exp_f32_e32 v49, v49                                     // 00000000D5D8: 7E624131
	v_mul_f32_e32 v4, v16, v4                                  // 00000000D5DC: 0A080910
	v_mov_b32_e32 v28, v42                                     // 00000000D5E0: 7E38032A
	v_add_f32_e32 v28, v43, v28                                // 00000000D5E4: 0238392B
	v_add_f32_e32 v28, v44, v28                                // 00000000D5E8: 0238392C
	v_add_f32_e32 v28, v45, v28                                // 00000000D5EC: 0238392D
	v_add_f32_e32 v28, v46, v28                                // 00000000D5F0: 0238392E
	v_add_f32_e32 v28, v47, v28                                // 00000000D5F4: 0238392F
	v_add_f32_e32 v28, v48, v28                                // 00000000D5F8: 02383930
	v_add_f32_e32 v28, v49, v28                                // 00000000D5FC: 02383931
	v_add_f32_e32 v4, v28, v4                                  // 00000000D600: 0208091C
	v_cvt_pk_bf16_f32 v42, v42, v43                            // 00000000D604: D268002A 0002572A
	v_cvt_pk_bf16_f32 v43, v44, v45                            // 00000000D60C: D268002B 00025B2C
	v_cvt_pk_bf16_f32 v44, v46, v47                            // 00000000D614: D268002C 00025F2E
	v_cvt_pk_bf16_f32 v45, v48, v49                            // 00000000D61C: D268002D 00026330
	s_nop 0                                                    // 00000000D624: BF800000
	v_permlane32_swap_b32_e32 v42, v44                         // 00000000D628: 7E54B52C
	v_permlane32_swap_b32_e32 v43, v45                         // 00000000D62C: 7E56B52D
	s_nop 0                                                    // 00000000D630: BF800000
	v_permlane16_swap_b32_e32 v42, v44                         // 00000000D634: 7E54B32C
	v_permlane16_swap_b32_e32 v43, v45                         // 00000000D638: 7E56B32D
	v_mov_b32_e32 v30, v16                                     // 00000000D63C: 7E3C0310
	v_mov_b32_e32 v31, v16                                     // 00000000D640: 7E3E0310
	v_pk_mul_f32 v[50:51], v[30:31], v[50:51]                  // 00000000D644: D3B14032 1802651E
	v_pk_mul_f32 v[52:53], v[30:31], v[52:53]                  // 00000000D64C: D3B14034 1802691E
	v_pk_mul_f32 v[54:55], v[30:31], v[54:55]                  // 00000000D654: D3B14036 18026D1E
	v_pk_mul_f32 v[56:57], v[30:31], v[56:57]                  // 00000000D65C: D3B14038 1802711E
	v_pk_mul_f32 v[58:59], v[30:31], v[58:59]                  // 00000000D664: D3B1403A 1802751E
	v_pk_mul_f32 v[60:61], v[30:31], v[60:61]                  // 00000000D66C: D3B1403C 1802791E
	v_pk_mul_f32 v[62:63], v[30:31], v[62:63]                  // 00000000D674: D3B1403E 18027D1E
	v_pk_mul_f32 v[64:65], v[30:31], v[64:65]                  // 00000000D67C: D3B14040 1802811E
	v_pk_mul_f32 v[66:67], v[30:31], v[66:67]                  // 00000000D684: D3B14042 1802851E
	v_pk_mul_f32 v[68:69], v[30:31], v[68:69]                  // 00000000D68C: D3B14044 1802891E
	v_pk_mul_f32 v[70:71], v[30:31], v[70:71]                  // 00000000D694: D3B14046 18028D1E
	v_pk_mul_f32 v[72:73], v[30:31], v[72:73]                  // 00000000D69C: D3B14048 1802911E
	v_pk_mul_f32 v[74:75], v[30:31], v[74:75]                  // 00000000D6A4: D3B1404A 1802951E
	v_pk_mul_f32 v[76:77], v[30:31], v[76:77]                  // 00000000D6AC: D3B1404C 1802991E
	v_pk_mul_f32 v[78:79], v[30:31], v[78:79]                  // 00000000D6B4: D3B1404E 18029D1E
	v_pk_mul_f32 v[80:81], v[30:31], v[80:81]                  // 00000000D6BC: D3B14050 1802A11E
	v_pk_mul_f32 v[82:83], v[30:31], v[82:83]                  // 00000000D6C4: D3B14052 1802A51E
	v_pk_mul_f32 v[84:85], v[30:31], v[84:85]                  // 00000000D6CC: D3B14054 1802A91E
	v_pk_mul_f32 v[86:87], v[30:31], v[86:87]                  // 00000000D6D4: D3B14056 1802AD1E
	v_pk_mul_f32 v[88:89], v[30:31], v[88:89]                  // 00000000D6DC: D3B14058 1802B11E
	v_pk_mul_f32 v[90:91], v[30:31], v[90:91]                  // 00000000D6E4: D3B1405A 1802B51E
	v_pk_mul_f32 v[92:93], v[30:31], v[92:93]                  // 00000000D6EC: D3B1405C 1802B91E
	v_pk_mul_f32 v[94:95], v[30:31], v[94:95]                  // 00000000D6F4: D3B1405E 1802BD1E
	v_pk_mul_f32 v[96:97], v[30:31], v[96:97]                  // 00000000D6FC: D3B14060 1802C11E
	v_pk_mul_f32 v[98:99], v[30:31], v[98:99]                  // 00000000D704: D3B14062 1802C51E
	v_pk_mul_f32 v[100:101], v[30:31], v[100:101]              // 00000000D70C: D3B14064 1802C91E
	v_pk_mul_f32 v[102:103], v[30:31], v[102:103]              // 00000000D714: D3B14066 1802CD1E
	v_pk_mul_f32 v[104:105], v[30:31], v[104:105]              // 00000000D71C: D3B14068 1802D11E
	v_pk_mul_f32 v[106:107], v[30:31], v[106:107]              // 00000000D724: D3B1406A 1802D51E
	v_pk_mul_f32 v[108:109], v[30:31], v[108:109]              // 00000000D72C: D3B1406C 1802D91E
	v_pk_mul_f32 v[110:111], v[30:31], v[110:111]              // 00000000D734: D3B1406E 1802DD1E
	v_pk_mul_f32 v[112:113], v[30:31], v[112:113]              // 00000000D73C: D3B14070 1802E11E
	v_pk_mul_f32 v[114:115], v[30:31], v[114:115]              // 00000000D744: D3B14072 1802E51E
	v_pk_mul_f32 v[116:117], v[30:31], v[116:117]              // 00000000D74C: D3B14074 1802E91E
	v_pk_mul_f32 v[118:119], v[30:31], v[118:119]              // 00000000D754: D3B14076 1802ED1E
	v_pk_mul_f32 v[120:121], v[30:31], v[120:121]              // 00000000D75C: D3B14078 1802F11E
	v_pk_mul_f32 v[122:123], v[30:31], v[122:123]              // 00000000D764: D3B1407A 1802F51E
	v_pk_mul_f32 v[124:125], v[30:31], v[124:125]              // 00000000D76C: D3B1407C 1802F91E
	v_pk_mul_f32 v[126:127], v[30:31], v[126:127]              // 00000000D774: D3B1407E 1802FD1E
	v_pk_mul_f32 v[128:129], v[30:31], v[128:129]              // 00000000D77C: D3B14080 1803011E
	v_pk_mul_f32 v[130:131], v[30:31], v[130:131]              // 00000000D784: D3B14082 1803051E
	v_pk_mul_f32 v[132:133], v[30:31], v[132:133]              // 00000000D78C: D3B14084 1803091E
	v_pk_mul_f32 v[134:135], v[30:31], v[134:135]              // 00000000D794: D3B14086 18030D1E
	v_pk_mul_f32 v[136:137], v[30:31], v[136:137]              // 00000000D79C: D3B14088 1803111E
	v_pk_mul_f32 v[138:139], v[30:31], v[138:139]              // 00000000D7A4: D3B1408A 1803151E
	v_pk_mul_f32 v[140:141], v[30:31], v[140:141]              // 00000000D7AC: D3B1408C 1803191E
	v_pk_mul_f32 v[142:143], v[30:31], v[142:143]              // 00000000D7B4: D3B1408E 18031D1E
	v_pk_mul_f32 v[144:145], v[30:31], v[144:145]              // 00000000D7BC: D3B14090 1803211E
	v_pk_mul_f32 v[146:147], v[30:31], v[146:147]              // 00000000D7C4: D3B14092 1803251E
	v_pk_mul_f32 v[148:149], v[30:31], v[148:149]              // 00000000D7CC: D3B14094 1803291E
	v_pk_mul_f32 v[150:151], v[30:31], v[150:151]              // 00000000D7D4: D3B14096 18032D1E
	v_pk_mul_f32 v[152:153], v[30:31], v[152:153]              // 00000000D7DC: D3B14098 1803311E
	v_pk_mul_f32 v[154:155], v[30:31], v[154:155]              // 00000000D7E4: D3B1409A 1803351E
	v_pk_mul_f32 v[156:157], v[30:31], v[156:157]              // 00000000D7EC: D3B1409C 1803391E
	v_pk_mul_f32 v[158:159], v[30:31], v[158:159]              // 00000000D7F4: D3B1409E 18033D1E
	v_pk_mul_f32 v[160:161], v[30:31], v[160:161]              // 00000000D7FC: D3B140A0 1803411E
	v_pk_mul_f32 v[162:163], v[30:31], v[162:163]              // 00000000D804: D3B140A2 1803451E
	v_pk_mul_f32 v[164:165], v[30:31], v[164:165]              // 00000000D80C: D3B140A4 1803491E
	v_pk_mul_f32 v[166:167], v[30:31], v[166:167]              // 00000000D814: D3B140A6 18034D1E
	v_pk_mul_f32 v[168:169], v[30:31], v[168:169]              // 00000000D81C: D3B140A8 1803511E
	v_pk_mul_f32 v[170:171], v[30:31], v[170:171]              // 00000000D824: D3B140AA 1803551E
	v_pk_mul_f32 v[172:173], v[30:31], v[172:173]              // 00000000D82C: D3B140AC 1803591E
	v_pk_mul_f32 v[174:175], v[30:31], v[174:175]              // 00000000D834: D3B140AE 18035D1E
	v_pk_mul_f32 v[176:177], v[30:31], v[176:177]              // 00000000D83C: D3B140B0 1803611E
	s_waitcnt lgkmcnt(0)                                       // 00000000D844: BF8CC07F
	v_mfma_f32_16x16x32_bf16 v[50:53], a[144:147], v[42:45], v[50:53]// 00000000D848: D3B50032 0CCA5590
	v_mfma_f32_16x16x32_bf16 v[54:57], a[148:151], v[42:45], v[54:57]// 00000000D850: D3B50036 0CDA5594
	v_mfma_f32_16x16x32_bf16 v[58:61], a[152:155], v[42:45], v[58:61]// 00000000D858: D3B5003A 0CEA5598
	v_mfma_f32_16x16x32_bf16 v[62:65], a[156:159], v[42:45], v[62:65]// 00000000D860: D3B5003E 0CFA559C
	v_mfma_f32_16x16x32_bf16 v[66:69], a[160:163], v[42:45], v[66:69]// 00000000D868: D3B50042 0D0A55A0
	v_mfma_f32_16x16x32_bf16 v[70:73], a[164:167], v[42:45], v[70:73]// 00000000D870: D3B50046 0D1A55A4
	v_mfma_f32_16x16x32_bf16 v[74:77], a[168:171], v[42:45], v[74:77]// 00000000D878: D3B5004A 0D2A55A8
	v_mfma_f32_16x16x32_bf16 v[78:81], a[172:175], v[42:45], v[78:81]// 00000000D880: D3B5004E 0D3A55AC
	v_mfma_f32_16x16x32_bf16 v[82:85], a[176:179], v[42:45], v[82:85]// 00000000D888: D3B50052 0D4A55B0
	v_mfma_f32_16x16x32_bf16 v[86:89], a[180:183], v[42:45], v[86:89]// 00000000D890: D3B50056 0D5A55B4
	v_mfma_f32_16x16x32_bf16 v[90:93], a[184:187], v[42:45], v[90:93]// 00000000D898: D3B5005A 0D6A55B8
	ds_read_b64_tr_b16 a[144:145], v14 offset:8192             // 00000000D8A0: DBC62000 9000000E
	ds_read_b64_tr_b16 a[146:147], v14 offset:8448             // 00000000D8A8: DBC62100 9200000E
	ds_read_b64_tr_b16 a[148:149], v15 offset:8192             // 00000000D8B0: DBC62000 9400000F
	ds_read_b64_tr_b16 a[150:151], v15 offset:8448             // 00000000D8B8: DBC62100 9600000F
	v_mfma_f32_16x16x32_bf16 v[94:97], a[188:191], v[42:45], v[94:97]// 00000000D8C0: D3B5005E 0D7A55BC
	ds_read_b64_tr_b16 a[152:153], v14 offset:9216             // 00000000D8C8: DBC62400 9800000E
	ds_read_b64_tr_b16 a[154:155], v14 offset:9472             // 00000000D8D0: DBC62500 9A00000E
	ds_read_b64_tr_b16 a[156:157], v15 offset:9216             // 00000000D8D8: DBC62400 9C00000F
	ds_read_b64_tr_b16 a[158:159], v15 offset:9472             // 00000000D8E0: DBC62500 9E00000F
	v_mfma_f32_16x16x32_bf16 v[98:101], a[192:195], v[42:45], v[98:101]// 00000000D8E8: D3B50062 0D8A55C0
	ds_read_b64_tr_b16 a[160:161], v14 offset:10240            // 00000000D8F0: DBC62800 A000000E
	ds_read_b64_tr_b16 a[162:163], v14 offset:10496            // 00000000D8F8: DBC62900 A200000E
	ds_read_b64_tr_b16 a[164:165], v15 offset:10240            // 00000000D900: DBC62800 A400000F
	ds_read_b64_tr_b16 a[166:167], v15 offset:10496            // 00000000D908: DBC62900 A600000F
	v_mfma_f32_16x16x32_bf16 v[102:105], a[196:199], v[42:45], v[102:105]// 00000000D910: D3B50066 0D9A55C4
	ds_read_b64_tr_b16 a[168:169], v14 offset:11264            // 00000000D918: DBC62C00 A800000E
	ds_read_b64_tr_b16 a[170:171], v14 offset:11520            // 00000000D920: DBC62D00 AA00000E
	ds_read_b64_tr_b16 a[172:173], v15 offset:11264            // 00000000D928: DBC62C00 AC00000F
	ds_read_b64_tr_b16 a[174:175], v15 offset:11520            // 00000000D930: DBC62D00 AE00000F
	v_mfma_f32_16x16x32_bf16 v[106:109], a[200:203], v[42:45], v[106:109]// 00000000D938: D3B5006A 0DAA55C8
	ds_read_b64_tr_b16 a[176:177], v14 offset:12288            // 00000000D940: DBC63000 B000000E
	ds_read_b64_tr_b16 a[178:179], v14 offset:12544            // 00000000D948: DBC63100 B200000E
	ds_read_b64_tr_b16 a[180:181], v15 offset:12288            // 00000000D950: DBC63000 B400000F
	ds_read_b64_tr_b16 a[182:183], v15 offset:12544            // 00000000D958: DBC63100 B600000F
	v_mfma_f32_16x16x32_bf16 v[110:113], a[204:207], v[42:45], v[110:113]// 00000000D960: D3B5006E 0DBA55CC
	ds_read_b64_tr_b16 a[184:185], v14 offset:13312            // 00000000D968: DBC63400 B800000E
	ds_read_b64_tr_b16 a[186:187], v14 offset:13568            // 00000000D970: DBC63500 BA00000E
	ds_read_b64_tr_b16 a[188:189], v15 offset:13312            // 00000000D978: DBC63400 BC00000F
	ds_read_b64_tr_b16 a[190:191], v15 offset:13568            // 00000000D980: DBC63500 BE00000F
	ds_read_b64_tr_b16 a[192:193], v14 offset:14336            // 00000000D988: DBC63800 C000000E
	ds_read_b64_tr_b16 a[194:195], v14 offset:14592            // 00000000D990: DBC63900 C200000E
	ds_read_b64_tr_b16 a[196:197], v15 offset:14336            // 00000000D998: DBC63800 C400000F
	ds_read_b64_tr_b16 a[198:199], v15 offset:14592            // 00000000D9A0: DBC63900 C600000F
	ds_read_b64_tr_b16 a[200:201], v14 offset:15360            // 00000000D9A8: DBC63C00 C800000E
	ds_read_b64_tr_b16 a[202:203], v14 offset:15616            // 00000000D9B0: DBC63D00 CA00000E
	ds_read_b64_tr_b16 a[204:205], v15 offset:15360            // 00000000D9B8: DBC63C00 CC00000F
	ds_read_b64_tr_b16 a[206:207], v15 offset:15616            // 00000000D9C0: DBC63D00 CE00000F
	s_waitcnt lgkmcnt(0)                                       // 00000000D9C8: BF8CC07F
	v_mfma_f32_16x16x32_bf16 v[114:117], a[144:147], v[42:45], v[114:117]// 00000000D9CC: D3B50072 0DCA5590
	v_mfma_f32_16x16x32_bf16 v[118:121], a[148:151], v[42:45], v[118:121]// 00000000D9D4: D3B50076 0DDA5594
	v_mfma_f32_16x16x32_bf16 v[122:125], a[152:155], v[42:45], v[122:125]// 00000000D9DC: D3B5007A 0DEA5598
	v_mfma_f32_16x16x32_bf16 v[126:129], a[156:159], v[42:45], v[126:129]// 00000000D9E4: D3B5007E 0DFA559C
	v_mfma_f32_16x16x32_bf16 v[130:133], a[160:163], v[42:45], v[130:133]// 00000000D9EC: D3B50082 0E0A55A0
	v_mfma_f32_16x16x32_bf16 v[134:137], a[164:167], v[42:45], v[134:137]// 00000000D9F4: D3B50086 0E1A55A4
	v_mfma_f32_16x16x32_bf16 v[138:141], a[168:171], v[42:45], v[138:141]// 00000000D9FC: D3B5008A 0E2A55A8
	v_mfma_f32_16x16x32_bf16 v[142:145], a[172:175], v[42:45], v[142:145]// 00000000DA04: D3B5008E 0E3A55AC
	v_mfma_f32_16x16x32_bf16 v[146:149], a[176:179], v[42:45], v[146:149]// 00000000DA0C: D3B50092 0E4A55B0
	v_mfma_f32_16x16x32_bf16 v[150:153], a[180:183], v[42:45], v[150:153]// 00000000DA14: D3B50096 0E5A55B4
	v_mfma_f32_16x16x32_bf16 v[154:157], a[184:187], v[42:45], v[154:157]// 00000000DA1C: D3B5009A 0E6A55B8
	v_mfma_f32_16x16x32_bf16 v[158:161], a[188:191], v[42:45], v[158:161]// 00000000DA24: D3B5009E 0E7A55BC
	v_mfma_f32_16x16x32_bf16 v[162:165], a[192:195], v[42:45], v[162:165]// 00000000DA2C: D3B500A2 0E8A55C0
	v_mfma_f32_16x16x32_bf16 v[166:169], a[196:199], v[42:45], v[166:169]// 00000000DA34: D3B500A6 0E9A55C4
	v_mfma_f32_16x16x32_bf16 v[170:173], a[200:203], v[42:45], v[170:173]// 00000000DA3C: D3B500AA 0EAA55C8
	v_mfma_f32_16x16x32_bf16 v[174:177], a[204:207], v[42:45], v[174:177]// 00000000DA44: D3B500AE 0EBA55CC
	s_nop 8                                                    // 00000000DA4C: BF800008
	s_branch label_B75C                                        // 00000000DA50: BF820000

000000000000da54 <label_B75C>:
	v_mov_b32_e32 v28, v4                                      // 00000000DA54: 7E380304
	v_mov_b32_e32 v29, v4                                      // 00000000DA58: 7E3A0304
	s_nop 1                                                    // 00000000DA5C: BF800001
	v_permlane16_swap_b32_e32 v28, v29                         // 00000000DA60: 7E38B31D
	v_mov_b32_e32 v31, v28                                     // 00000000DA64: 7E3E031C
	v_mov_b32_e32 v30, v29                                     // 00000000DA68: 7E3C031D
	s_nop 1                                                    // 00000000DA6C: BF800001
	v_permlane32_swap_b32_e32 v28, v29                         // 00000000DA70: 7E38B51D
	v_permlane32_swap_b32_e32 v30, v31                         // 00000000DA74: 7E3CB51F
	v_mov_b32_e32 v4, 0                                        // 00000000DA78: 7E080280
	v_add_f32_e32 v4, v28, v4                                  // 00000000DA7C: 0208091C
	v_add_f32_e32 v4, v29, v4                                  // 00000000DA80: 0208091D
	v_add_f32_e32 v4, v30, v4                                  // 00000000DA84: 0208091E
	v_add_f32_e32 v4, v31, v4                                  // 00000000DA88: 0208091F
	v_mov_b32_e32 v28, 0                                       // 00000000DA8C: 7E380280
	v_cmp_eq_u32_e64 s[36:37], v28, v4                         // 00000000DA90: D0CA0024 0002091C
	v_mul_f32_e64 v28, v2, s64                                 // 00000000DA98: D105001C 00008102
	v_log_f32_e32 v29, v4                                      // 00000000DAA0: 7E3A4304
	s_nop 1                                                    // 00000000DAA4: BF800001
	v_rcp_f32_e32 v4, v4                                       // 00000000DAA8: 7E084504
	s_nop 1                                                    // 00000000DAAC: BF800001
	v_fma_f32 v1, v29, s63, v28                                // 00000000DAB0: D1CB0001 04707F1D
	v_mul_f32_e32 v50, v4, v50                                 // 00000000DAB8: 0A646504
	v_mul_f32_e32 v51, v4, v51                                 // 00000000DABC: 0A666704
	v_mul_f32_e32 v52, v4, v52                                 // 00000000DAC0: 0A686904
	v_mul_f32_e32 v53, v4, v53                                 // 00000000DAC4: 0A6A6B04
	v_mul_f32_e32 v54, v4, v54                                 // 00000000DAC8: 0A6C6D04
	v_mul_f32_e32 v55, v4, v55                                 // 00000000DACC: 0A6E6F04
	v_mul_f32_e32 v56, v4, v56                                 // 00000000DAD0: 0A707104
	v_mul_f32_e32 v57, v4, v57                                 // 00000000DAD4: 0A727304
	v_mul_f32_e32 v58, v4, v58                                 // 00000000DAD8: 0A747504
	v_mul_f32_e32 v59, v4, v59                                 // 00000000DADC: 0A767704
	v_mul_f32_e32 v60, v4, v60                                 // 00000000DAE0: 0A787904
	v_mul_f32_e32 v61, v4, v61                                 // 00000000DAE4: 0A7A7B04
	v_mul_f32_e32 v62, v4, v62                                 // 00000000DAE8: 0A7C7D04
	v_mul_f32_e32 v63, v4, v63                                 // 00000000DAEC: 0A7E7F04
	v_mul_f32_e32 v64, v4, v64                                 // 00000000DAF0: 0A808104
	v_mul_f32_e32 v65, v4, v65                                 // 00000000DAF4: 0A828304
	v_mul_f32_e32 v66, v4, v66                                 // 00000000DAF8: 0A848504
	v_mul_f32_e32 v67, v4, v67                                 // 00000000DAFC: 0A868704
	v_mul_f32_e32 v68, v4, v68                                 // 00000000DB00: 0A888904
	v_mul_f32_e32 v69, v4, v69                                 // 00000000DB04: 0A8A8B04
	v_mul_f32_e32 v70, v4, v70                                 // 00000000DB08: 0A8C8D04
	v_mul_f32_e32 v71, v4, v71                                 // 00000000DB0C: 0A8E8F04
	v_mul_f32_e32 v72, v4, v72                                 // 00000000DB10: 0A909104
	v_mul_f32_e32 v73, v4, v73                                 // 00000000DB14: 0A929304
	v_mul_f32_e32 v74, v4, v74                                 // 00000000DB18: 0A949504
	v_mul_f32_e32 v75, v4, v75                                 // 00000000DB1C: 0A969704
	v_mul_f32_e32 v76, v4, v76                                 // 00000000DB20: 0A989904
	v_mul_f32_e32 v77, v4, v77                                 // 00000000DB24: 0A9A9B04
	v_mul_f32_e32 v78, v4, v78                                 // 00000000DB28: 0A9C9D04
	v_mul_f32_e32 v79, v4, v79                                 // 00000000DB2C: 0A9E9F04
	v_mul_f32_e32 v80, v4, v80                                 // 00000000DB30: 0AA0A104
	v_mul_f32_e32 v81, v4, v81                                 // 00000000DB34: 0AA2A304
	v_mul_f32_e32 v82, v4, v82                                 // 00000000DB38: 0AA4A504
	v_mul_f32_e32 v83, v4, v83                                 // 00000000DB3C: 0AA6A704
	v_mul_f32_e32 v84, v4, v84                                 // 00000000DB40: 0AA8A904
	v_mul_f32_e32 v85, v4, v85                                 // 00000000DB44: 0AAAAB04
	v_mul_f32_e32 v86, v4, v86                                 // 00000000DB48: 0AACAD04
	v_mul_f32_e32 v87, v4, v87                                 // 00000000DB4C: 0AAEAF04
	v_mul_f32_e32 v88, v4, v88                                 // 00000000DB50: 0AB0B104
	v_mul_f32_e32 v89, v4, v89                                 // 00000000DB54: 0AB2B304
	v_mul_f32_e32 v90, v4, v90                                 // 00000000DB58: 0AB4B504
	v_mul_f32_e32 v91, v4, v91                                 // 00000000DB5C: 0AB6B704
	v_mul_f32_e32 v92, v4, v92                                 // 00000000DB60: 0AB8B904
	v_mul_f32_e32 v93, v4, v93                                 // 00000000DB64: 0ABABB04
	v_mul_f32_e32 v94, v4, v94                                 // 00000000DB68: 0ABCBD04
	v_mul_f32_e32 v95, v4, v95                                 // 00000000DB6C: 0ABEBF04
	v_mul_f32_e32 v96, v4, v96                                 // 00000000DB70: 0AC0C104
	v_mul_f32_e32 v97, v4, v97                                 // 00000000DB74: 0AC2C304
	v_mul_f32_e32 v98, v4, v98                                 // 00000000DB78: 0AC4C504
	v_mul_f32_e32 v99, v4, v99                                 // 00000000DB7C: 0AC6C704
	v_mul_f32_e32 v100, v4, v100                               // 00000000DB80: 0AC8C904
	v_mul_f32_e32 v101, v4, v101                               // 00000000DB84: 0ACACB04
	v_mul_f32_e32 v102, v4, v102                               // 00000000DB88: 0ACCCD04
	v_mul_f32_e32 v103, v4, v103                               // 00000000DB8C: 0ACECF04
	v_mul_f32_e32 v104, v4, v104                               // 00000000DB90: 0AD0D104
	v_mul_f32_e32 v105, v4, v105                               // 00000000DB94: 0AD2D304
	v_mul_f32_e32 v106, v4, v106                               // 00000000DB98: 0AD4D504
	v_mul_f32_e32 v107, v4, v107                               // 00000000DB9C: 0AD6D704
	v_mul_f32_e32 v108, v4, v108                               // 00000000DBA0: 0AD8D904
	v_mul_f32_e32 v109, v4, v109                               // 00000000DBA4: 0ADADB04
	v_mul_f32_e32 v110, v4, v110                               // 00000000DBA8: 0ADCDD04
	v_mul_f32_e32 v111, v4, v111                               // 00000000DBAC: 0ADEDF04
	v_mul_f32_e32 v112, v4, v112                               // 00000000DBB0: 0AE0E104
	v_mul_f32_e32 v113, v4, v113                               // 00000000DBB4: 0AE2E304
	v_mul_f32_e32 v114, v4, v114                               // 00000000DBB8: 0AE4E504
	v_mul_f32_e32 v115, v4, v115                               // 00000000DBBC: 0AE6E704
	v_mul_f32_e32 v116, v4, v116                               // 00000000DBC0: 0AE8E904
	v_mul_f32_e32 v117, v4, v117                               // 00000000DBC4: 0AEAEB04
	v_mul_f32_e32 v118, v4, v118                               // 00000000DBC8: 0AECED04
	v_mul_f32_e32 v119, v4, v119                               // 00000000DBCC: 0AEEEF04
	v_mul_f32_e32 v120, v4, v120                               // 00000000DBD0: 0AF0F104
	v_mul_f32_e32 v121, v4, v121                               // 00000000DBD4: 0AF2F304
	v_mul_f32_e32 v122, v4, v122                               // 00000000DBD8: 0AF4F504
	v_mul_f32_e32 v123, v4, v123                               // 00000000DBDC: 0AF6F704
	v_mul_f32_e32 v124, v4, v124                               // 00000000DBE0: 0AF8F904
	v_mul_f32_e32 v125, v4, v125                               // 00000000DBE4: 0AFAFB04
	v_mul_f32_e32 v126, v4, v126                               // 00000000DBE8: 0AFCFD04
	v_mul_f32_e32 v127, v4, v127                               // 00000000DBEC: 0AFEFF04
	v_mul_f32_e32 v128, v4, v128                               // 00000000DBF0: 0B010104
	v_mul_f32_e32 v129, v4, v129                               // 00000000DBF4: 0B030304
	v_mul_f32_e32 v130, v4, v130                               // 00000000DBF8: 0B050504
	v_mul_f32_e32 v131, v4, v131                               // 00000000DBFC: 0B070704
	v_mul_f32_e32 v132, v4, v132                               // 00000000DC00: 0B090904
	v_mul_f32_e32 v133, v4, v133                               // 00000000DC04: 0B0B0B04
	v_mul_f32_e32 v134, v4, v134                               // 00000000DC08: 0B0D0D04
	v_mul_f32_e32 v135, v4, v135                               // 00000000DC0C: 0B0F0F04
	v_mul_f32_e32 v136, v4, v136                               // 00000000DC10: 0B111104
	v_mul_f32_e32 v137, v4, v137                               // 00000000DC14: 0B131304
	v_mul_f32_e32 v138, v4, v138                               // 00000000DC18: 0B151504
	v_mul_f32_e32 v139, v4, v139                               // 00000000DC1C: 0B171704
	v_mul_f32_e32 v140, v4, v140                               // 00000000DC20: 0B191904
	v_mul_f32_e32 v141, v4, v141                               // 00000000DC24: 0B1B1B04
	v_mul_f32_e32 v142, v4, v142                               // 00000000DC28: 0B1D1D04
	v_mul_f32_e32 v143, v4, v143                               // 00000000DC2C: 0B1F1F04
	v_mul_f32_e32 v144, v4, v144                               // 00000000DC30: 0B212104
	v_mul_f32_e32 v145, v4, v145                               // 00000000DC34: 0B232304
	v_mul_f32_e32 v146, v4, v146                               // 00000000DC38: 0B252504
	v_mul_f32_e32 v147, v4, v147                               // 00000000DC3C: 0B272704
	v_mul_f32_e32 v148, v4, v148                               // 00000000DC40: 0B292904
	v_mul_f32_e32 v149, v4, v149                               // 00000000DC44: 0B2B2B04
	v_mul_f32_e32 v150, v4, v150                               // 00000000DC48: 0B2D2D04
	v_mul_f32_e32 v151, v4, v151                               // 00000000DC4C: 0B2F2F04
	v_mul_f32_e32 v152, v4, v152                               // 00000000DC50: 0B313104
	v_mul_f32_e32 v153, v4, v153                               // 00000000DC54: 0B333304
	v_mul_f32_e32 v154, v4, v154                               // 00000000DC58: 0B353504
	v_mul_f32_e32 v155, v4, v155                               // 00000000DC5C: 0B373704
	v_mul_f32_e32 v156, v4, v156                               // 00000000DC60: 0B393904
	v_mul_f32_e32 v157, v4, v157                               // 00000000DC64: 0B3B3B04
	v_mul_f32_e32 v158, v4, v158                               // 00000000DC68: 0B3D3D04
	v_mul_f32_e32 v159, v4, v159                               // 00000000DC6C: 0B3F3F04
	v_mul_f32_e32 v160, v4, v160                               // 00000000DC70: 0B414104
	v_mul_f32_e32 v161, v4, v161                               // 00000000DC74: 0B434304
	v_mul_f32_e32 v162, v4, v162                               // 00000000DC78: 0B454504
	v_mul_f32_e32 v163, v4, v163                               // 00000000DC7C: 0B474704
	v_mul_f32_e32 v164, v4, v164                               // 00000000DC80: 0B494904
	v_mul_f32_e32 v165, v4, v165                               // 00000000DC84: 0B4B4B04
	v_mul_f32_e32 v166, v4, v166                               // 00000000DC88: 0B4D4D04
	v_mul_f32_e32 v167, v4, v167                               // 00000000DC8C: 0B4F4F04
	v_mul_f32_e32 v168, v4, v168                               // 00000000DC90: 0B515104
	v_mul_f32_e32 v169, v4, v169                               // 00000000DC94: 0B535304
	v_mul_f32_e32 v170, v4, v170                               // 00000000DC98: 0B555504
	v_mul_f32_e32 v171, v4, v171                               // 00000000DC9C: 0B575704
	v_mul_f32_e32 v172, v4, v172                               // 00000000DCA0: 0B595904
	v_mul_f32_e32 v173, v4, v173                               // 00000000DCA4: 0B5B5B04
	v_mul_f32_e32 v174, v4, v174                               // 00000000DCA8: 0B5D5D04
	v_mul_f32_e32 v175, v4, v175                               // 00000000DCAC: 0B5F5F04
	v_mul_f32_e32 v176, v4, v176                               // 00000000DCB0: 0B616104
	v_mul_f32_e32 v177, v4, v177                               // 00000000DCB4: 0B636304
	s_cmp_lt_i32 s87, 0                                        // 00000000DCB8: BF048057
	s_cbranch_scc1 label_C0E8                                  // 00000000DCBC: BF8501C8
	s_mul_i32 s75, 0x800, s92                                  // 00000000DCC0: 924B5CFF 00000800
	s_mul_i32 s56, s87, s75                                    // 00000000DCC8: 92384B57
	s_add_u32 s8, s56, s8                                      // 00000000DCCC: 80080838
	s_addc_u32 s9, 0, s9                                       // 00000000DCD0: 82090980
	s_mul_i32 s56, s75, s81                                    // 00000000DCD4: 9238514B
	s_mov_b32 s10, s56                                         // 00000000DCD8: BE8A0038
	s_mul_i32 s56, 0x8000, s7                                  // 00000000DCDC: 923807FF 00008000
	v_lshrrev_b32_e32 v28, 5, v0                               // 00000000DCE4: 20380085
	s_mov_b32 s57, 0x800                                       // 00000000DCE8: BEB900FF 00000800
	v_mul_i32_i24_e32 v28, s57, v28                            // 00000000DCF0: 0C383839
	v_and_b32_e32 v5, 31, v0                                   // 00000000DCF4: 260A009F
	v_lshlrev_b32_e32 v5, 4, v5                                // 00000000DCF8: 240A0A84
	v_add_u32_e32 v5, v5, v28                                  // 00000000DCFC: 680A3905
	v_add_u32_e64 v5, v5, s56                                  // 00000000DD00: D1340005 00007105
	s_mul_i32 s57, 4, s92                                      // 00000000DD08: 92395C84
	s_mul_i32 s56, s87, s57                                    // 00000000DD0C: 92383957
	s_add_u32 s12, s56, s12                                    // 00000000DD10: 800C0C38
	s_addc_u32 s13, 0, s13                                     // 00000000DD14: 820D0D80
	s_mul_i32 s56, s81, s57                                    // 00000000DD18: 92383951
	s_mov_b32 s14, s56                                         // 00000000DD1C: BE8E0038
	v_and_b32_e32 v4, 15, v0                                   // 00000000DD20: 2608008F
	v_lshlrev_b32_e32 v4, 2, v4                                // 00000000DD24: 24080882
	s_mul_i32 s56, s7, 64                                      // 00000000DD28: 9238C007
	v_add_u32_e64 v4, v4, s56                                  // 00000000DD2C: D1340004 00007104
	v_mov_b32_e32 v2, v5                                       // 00000000DD34: 7E040305
	s_waitcnt vmcnt(0)                                         // 00000000DD38: BF8C0F70
	s_waitcnt lgkmcnt(0)                                       // 00000000DD3C: BF8CC07F
	v_lshlrev_b32_e32 v16, 2, v0                               // 00000000DD40: 24200082
	s_mul_i32 s56, s7, 0x840                                   // 00000000DD44: 9238FF07 00000840
	v_add_u32_e32 v16, s56, v16                                // 00000000DD4C: 68202038
	v_lshlrev_b32_e32 v16, 2, v16                              // 00000000DD50: 24202082
	v_lshrrev_b32_e32 v28, 5, v0                               // 00000000DD54: 20380085
	v_mul_i32_i24_e32 v3, 4, v28                               // 00000000DD58: 0C063884
	v_and_b32_e32 v28, 31, v0                                  // 00000000DD5C: 2638009F
	v_lshrrev_b32_e32 v28, 2, v28                              // 00000000DD60: 20383882
	v_mul_i32_i24_e32 v28, 8, v28                              // 00000000DD64: 0C383888
	v_add_u32_e32 v3, v28, v3                                  // 00000000DD68: 6806071C
	v_and_b32_e32 v28, 31, v0                                  // 00000000DD6C: 2638009F
	v_mul_i32_i24_e32 v28, 64, v28                             // 00000000DD70: 0C3838C0
	v_add_u32_e32 v3, v28, v3                                  // 00000000DD74: 6806071C
	s_mul_i32 s56, s7, 0x840                                   // 00000000DD78: 9238FF07 00000840
	v_add_u32_e32 v3, s56, v3                                  // 00000000DD80: 68060638
	v_lshlrev_b32_e32 v3, 2, v3                                // 00000000DD84: 24060682
	s_mul_i32 s56, 0, s94                                      // 00000000DD88: 92385E80
	v_add_u32_e64 v2, v2, s56                                  // 00000000DD8C: D1340002 00007102
	v_mov_b32_e32 v28, v50                                     // 00000000DD94: 7E380332
	v_mov_b32_e32 v29, v51                                     // 00000000DD98: 7E3A0333
	v_mov_b32_e32 v30, v52                                     // 00000000DD9C: 7E3C0334
	v_mov_b32_e32 v31, v53                                     // 00000000DDA0: 7E3E0335
	ds_write_b128 v16, v[28:31]                                // 00000000DDA4: D9BE0000 00001C10
	v_mov_b32_e32 v28, v54                                     // 00000000DDAC: 7E380336
	v_mov_b32_e32 v29, v55                                     // 00000000DDB0: 7E3A0337
	v_mov_b32_e32 v30, v56                                     // 00000000DDB4: 7E3C0338
	v_mov_b32_e32 v31, v57                                     // 00000000DDB8: 7E3E0339
	ds_write_b128 v16, v[28:31] offset:1056                    // 00000000DDBC: D9BE0420 00001C10
	v_mov_b32_e32 v28, v58                                     // 00000000DDC4: 7E38033A
	v_mov_b32_e32 v29, v59                                     // 00000000DDC8: 7E3A033B
	v_mov_b32_e32 v30, v60                                     // 00000000DDCC: 7E3C033C
	v_mov_b32_e32 v31, v61                                     // 00000000DDD0: 7E3E033D
	ds_write_b128 v16, v[28:31] offset:2112                    // 00000000DDD4: D9BE0840 00001C10
	v_mov_b32_e32 v28, v62                                     // 00000000DDDC: 7E38033E
	v_mov_b32_e32 v29, v63                                     // 00000000DDE0: 7E3A033F
	v_mov_b32_e32 v30, v64                                     // 00000000DDE4: 7E3C0340
	v_mov_b32_e32 v31, v65                                     // 00000000DDE8: 7E3E0341
	ds_write_b128 v16, v[28:31] offset:3168                    // 00000000DDEC: D9BE0C60 00001C10
	v_mov_b32_e32 v28, v66                                     // 00000000DDF4: 7E380342
	v_mov_b32_e32 v29, v67                                     // 00000000DDF8: 7E3A0343
	v_mov_b32_e32 v30, v68                                     // 00000000DDFC: 7E3C0344
	v_mov_b32_e32 v31, v69                                     // 00000000DE00: 7E3E0345
	ds_write_b128 v16, v[28:31] offset:4224                    // 00000000DE04: D9BE1080 00001C10
	v_mov_b32_e32 v28, v70                                     // 00000000DE0C: 7E380346
	v_mov_b32_e32 v29, v71                                     // 00000000DE10: 7E3A0347
	v_mov_b32_e32 v30, v72                                     // 00000000DE14: 7E3C0348
	v_mov_b32_e32 v31, v73                                     // 00000000DE18: 7E3E0349
	ds_write_b128 v16, v[28:31] offset:5280                    // 00000000DE1C: D9BE14A0 00001C10
	v_mov_b32_e32 v28, v74                                     // 00000000DE24: 7E38034A
	v_mov_b32_e32 v29, v75                                     // 00000000DE28: 7E3A034B
	v_mov_b32_e32 v30, v76                                     // 00000000DE2C: 7E3C034C
	v_mov_b32_e32 v31, v77                                     // 00000000DE30: 7E3E034D
	ds_write_b128 v16, v[28:31] offset:6336                    // 00000000DE34: D9BE18C0 00001C10
	v_mov_b32_e32 v28, v78                                     // 00000000DE3C: 7E38034E
	v_mov_b32_e32 v29, v79                                     // 00000000DE40: 7E3A034F
	v_mov_b32_e32 v30, v80                                     // 00000000DE44: 7E3C0350
	v_mov_b32_e32 v31, v81                                     // 00000000DE48: 7E3E0351
	ds_write_b128 v16, v[28:31] offset:7392                    // 00000000DE4C: D9BE1CE0 00001C10
	s_waitcnt lgkmcnt(4)                                       // 00000000DE54: BF8CC47F
	ds_read_b128 v[50:53], v3                                  // 00000000DE58: D9FE0000 32000003
	ds_read_b128 v[54:57], v3 offset:32                        // 00000000DE60: D9FE0020 36000003
	ds_read_b128 v[58:61], v3 offset:64                        // 00000000DE68: D9FE0040 3A000003
	ds_read_b128 v[62:65], v3 offset:96                        // 00000000DE70: D9FE0060 3E000003
	s_waitcnt lgkmcnt(4)                                       // 00000000DE78: BF8CC47F
	ds_read_b128 v[66:69], v3 offset:128                       // 00000000DE7C: D9FE0080 42000003
	ds_read_b128 v[70:73], v3 offset:160                       // 00000000DE84: D9FE00A0 46000003
	ds_read_b128 v[74:77], v3 offset:192                       // 00000000DE8C: D9FE00C0 4A000003
	ds_read_b128 v[78:81], v3 offset:224                       // 00000000DE94: D9FE00E0 4E000003
	s_waitcnt lgkmcnt(0)                                       // 00000000DE9C: BF8CC07F
	v_mov_b32_e32 v5, v2                                       // 00000000DEA0: 7E0A0302
	buffer_store_dwordx4 v[50:53], v5, s[8:11], 0 offen        // 00000000DEA4: E07C1000 80023205
	v_add_u32_e32 v5, 0x1000, v5                               // 00000000DEAC: 680A0AFF 00001000
	buffer_store_dwordx4 v[54:57], v5, s[8:11], 0 offen        // 00000000DEB4: E07C1000 80023605
	v_add_u32_e32 v5, 0x1000, v5                               // 00000000DEBC: 680A0AFF 00001000
	buffer_store_dwordx4 v[58:61], v5, s[8:11], 0 offen        // 00000000DEC4: E07C1000 80023A05
	v_add_u32_e32 v5, 0x1000, v5                               // 00000000DECC: 680A0AFF 00001000
	buffer_store_dwordx4 v[62:65], v5, s[8:11], 0 offen        // 00000000DED4: E07C1000 80023E05
	v_add_u32_e32 v5, 0x1000, v5                               // 00000000DEDC: 680A0AFF 00001000
	buffer_store_dwordx4 v[66:69], v5, s[8:11], 0 offen        // 00000000DEE4: E07C1000 80024205
	v_add_u32_e32 v5, 0x1000, v5                               // 00000000DEEC: 680A0AFF 00001000
	buffer_store_dwordx4 v[70:73], v5, s[8:11], 0 offen        // 00000000DEF4: E07C1000 80024605
	v_add_u32_e32 v5, 0x1000, v5                               // 00000000DEFC: 680A0AFF 00001000
	buffer_store_dwordx4 v[74:77], v5, s[8:11], 0 offen        // 00000000DF04: E07C1000 80024A05
	v_add_u32_e32 v5, 0x1000, v5                               // 00000000DF0C: 680A0AFF 00001000
	buffer_store_dwordx4 v[78:81], v5, s[8:11], 0 offen        // 00000000DF14: E07C1000 80024E05
	v_add_u32_e32 v5, 0x1000, v5                               // 00000000DF1C: 680A0AFF 00001000
	v_mov_b32_e32 v28, v82                                     // 00000000DF24: 7E380352
	v_mov_b32_e32 v29, v83                                     // 00000000DF28: 7E3A0353
	v_mov_b32_e32 v30, v84                                     // 00000000DF2C: 7E3C0354
	v_mov_b32_e32 v31, v85                                     // 00000000DF30: 7E3E0355
	ds_write_b128 v16, v[28:31]                                // 00000000DF34: D9BE0000 00001C10
	v_mov_b32_e32 v28, v86                                     // 00000000DF3C: 7E380356
	v_mov_b32_e32 v29, v87                                     // 00000000DF40: 7E3A0357
	v_mov_b32_e32 v30, v88                                     // 00000000DF44: 7E3C0358
	v_mov_b32_e32 v31, v89                                     // 00000000DF48: 7E3E0359
	ds_write_b128 v16, v[28:31] offset:1056                    // 00000000DF4C: D9BE0420 00001C10
	v_mov_b32_e32 v28, v90                                     // 00000000DF54: 7E38035A
	v_mov_b32_e32 v29, v91                                     // 00000000DF58: 7E3A035B
	v_mov_b32_e32 v30, v92                                     // 00000000DF5C: 7E3C035C
	v_mov_b32_e32 v31, v93                                     // 00000000DF60: 7E3E035D
	ds_write_b128 v16, v[28:31] offset:2112                    // 00000000DF64: D9BE0840 00001C10
	v_mov_b32_e32 v28, v94                                     // 00000000DF6C: 7E38035E
	v_mov_b32_e32 v29, v95                                     // 00000000DF70: 7E3A035F
	v_mov_b32_e32 v30, v96                                     // 00000000DF74: 7E3C0360
	v_mov_b32_e32 v31, v97                                     // 00000000DF78: 7E3E0361
	ds_write_b128 v16, v[28:31] offset:3168                    // 00000000DF7C: D9BE0C60 00001C10
	v_mov_b32_e32 v28, v98                                     // 00000000DF84: 7E380362
	v_mov_b32_e32 v29, v99                                     // 00000000DF88: 7E3A0363
	v_mov_b32_e32 v30, v100                                    // 00000000DF8C: 7E3C0364
	v_mov_b32_e32 v31, v101                                    // 00000000DF90: 7E3E0365
	ds_write_b128 v16, v[28:31] offset:4224                    // 00000000DF94: D9BE1080 00001C10
	v_mov_b32_e32 v28, v102                                    // 00000000DF9C: 7E380366
	v_mov_b32_e32 v29, v103                                    // 00000000DFA0: 7E3A0367
	v_mov_b32_e32 v30, v104                                    // 00000000DFA4: 7E3C0368
	v_mov_b32_e32 v31, v105                                    // 00000000DFA8: 7E3E0369
	ds_write_b128 v16, v[28:31] offset:5280                    // 00000000DFAC: D9BE14A0 00001C10
	v_mov_b32_e32 v28, v106                                    // 00000000DFB4: 7E38036A
	v_mov_b32_e32 v29, v107                                    // 00000000DFB8: 7E3A036B
	v_mov_b32_e32 v30, v108                                    // 00000000DFBC: 7E3C036C
	v_mov_b32_e32 v31, v109                                    // 00000000DFC0: 7E3E036D
	ds_write_b128 v16, v[28:31] offset:6336                    // 00000000DFC4: D9BE18C0 00001C10
	v_mov_b32_e32 v28, v110                                    // 00000000DFCC: 7E38036E
	v_mov_b32_e32 v29, v111                                    // 00000000DFD0: 7E3A036F
	v_mov_b32_e32 v30, v112                                    // 00000000DFD4: 7E3C0370
	v_mov_b32_e32 v31, v113                                    // 00000000DFD8: 7E3E0371
	ds_write_b128 v16, v[28:31] offset:7392                    // 00000000DFDC: D9BE1CE0 00001C10
	s_waitcnt lgkmcnt(4)                                       // 00000000DFE4: BF8CC47F
	ds_read_b128 v[50:53], v3                                  // 00000000DFE8: D9FE0000 32000003
	ds_read_b128 v[54:57], v3 offset:32                        // 00000000DFF0: D9FE0020 36000003
	ds_read_b128 v[58:61], v3 offset:64                        // 00000000DFF8: D9FE0040 3A000003
	ds_read_b128 v[62:65], v3 offset:96                        // 00000000E000: D9FE0060 3E000003
	s_waitcnt lgkmcnt(4)                                       // 00000000E008: BF8CC47F
	ds_read_b128 v[66:69], v3 offset:128                       // 00000000E00C: D9FE0080 42000003
	ds_read_b128 v[70:73], v3 offset:160                       // 00000000E014: D9FE00A0 46000003
	ds_read_b128 v[74:77], v3 offset:192                       // 00000000E01C: D9FE00C0 4A000003
	ds_read_b128 v[78:81], v3 offset:224                       // 00000000E024: D9FE00E0 4E000003
	s_waitcnt lgkmcnt(0)                                       // 00000000E02C: BF8CC07F
	v_mov_b32_e32 v5, v2                                       // 00000000E030: 7E0A0302
	buffer_store_dwordx4 v[50:53], v5, s[8:11], 0 offen offset:512// 00000000E034: E07C1200 80023205
	v_add_u32_e32 v5, 0x1000, v5                               // 00000000E03C: 680A0AFF 00001000
	buffer_store_dwordx4 v[54:57], v5, s[8:11], 0 offen offset:512// 00000000E044: E07C1200 80023605
	v_add_u32_e32 v5, 0x1000, v5                               // 00000000E04C: 680A0AFF 00001000
	buffer_store_dwordx4 v[58:61], v5, s[8:11], 0 offen offset:512// 00000000E054: E07C1200 80023A05
	v_add_u32_e32 v5, 0x1000, v5                               // 00000000E05C: 680A0AFF 00001000
	buffer_store_dwordx4 v[62:65], v5, s[8:11], 0 offen offset:512// 00000000E064: E07C1200 80023E05
	v_add_u32_e32 v5, 0x1000, v5                               // 00000000E06C: 680A0AFF 00001000
	buffer_store_dwordx4 v[66:69], v5, s[8:11], 0 offen offset:512// 00000000E074: E07C1200 80024205
	v_add_u32_e32 v5, 0x1000, v5                               // 00000000E07C: 680A0AFF 00001000
	buffer_store_dwordx4 v[70:73], v5, s[8:11], 0 offen offset:512// 00000000E084: E07C1200 80024605
	v_add_u32_e32 v5, 0x1000, v5                               // 00000000E08C: 680A0AFF 00001000
	buffer_store_dwordx4 v[74:77], v5, s[8:11], 0 offen offset:512// 00000000E094: E07C1200 80024A05
	v_add_u32_e32 v5, 0x1000, v5                               // 00000000E09C: 680A0AFF 00001000
	buffer_store_dwordx4 v[78:81], v5, s[8:11], 0 offen offset:512// 00000000E0A4: E07C1200 80024E05
	v_add_u32_e32 v5, 0x1000, v5                               // 00000000E0AC: 680A0AFF 00001000
	v_mov_b32_e32 v28, v114                                    // 00000000E0B4: 7E380372
	v_mov_b32_e32 v29, v115                                    // 00000000E0B8: 7E3A0373
	v_mov_b32_e32 v30, v116                                    // 00000000E0BC: 7E3C0374
	v_mov_b32_e32 v31, v117                                    // 00000000E0C0: 7E3E0375
	ds_write_b128 v16, v[28:31]                                // 00000000E0C4: D9BE0000 00001C10
	v_mov_b32_e32 v28, v118                                    // 00000000E0CC: 7E380376
	v_mov_b32_e32 v29, v119                                    // 00000000E0D0: 7E3A0377
	v_mov_b32_e32 v30, v120                                    // 00000000E0D4: 7E3C0378
	v_mov_b32_e32 v31, v121                                    // 00000000E0D8: 7E3E0379
	ds_write_b128 v16, v[28:31] offset:1056                    // 00000000E0DC: D9BE0420 00001C10
	v_mov_b32_e32 v28, v122                                    // 00000000E0E4: 7E38037A
	v_mov_b32_e32 v29, v123                                    // 00000000E0E8: 7E3A037B
	v_mov_b32_e32 v30, v124                                    // 00000000E0EC: 7E3C037C
	v_mov_b32_e32 v31, v125                                    // 00000000E0F0: 7E3E037D
	ds_write_b128 v16, v[28:31] offset:2112                    // 00000000E0F4: D9BE0840 00001C10
	v_mov_b32_e32 v28, v126                                    // 00000000E0FC: 7E38037E
	v_mov_b32_e32 v29, v127                                    // 00000000E100: 7E3A037F
	v_mov_b32_e32 v30, v128                                    // 00000000E104: 7E3C0380
	v_mov_b32_e32 v31, v129                                    // 00000000E108: 7E3E0381
	ds_write_b128 v16, v[28:31] offset:3168                    // 00000000E10C: D9BE0C60 00001C10
	v_mov_b32_e32 v28, v130                                    // 00000000E114: 7E380382
	v_mov_b32_e32 v29, v131                                    // 00000000E118: 7E3A0383
	v_mov_b32_e32 v30, v132                                    // 00000000E11C: 7E3C0384
	v_mov_b32_e32 v31, v133                                    // 00000000E120: 7E3E0385
	ds_write_b128 v16, v[28:31] offset:4224                    // 00000000E124: D9BE1080 00001C10
	v_mov_b32_e32 v28, v134                                    // 00000000E12C: 7E380386
	v_mov_b32_e32 v29, v135                                    // 00000000E130: 7E3A0387
	v_mov_b32_e32 v30, v136                                    // 00000000E134: 7E3C0388
	v_mov_b32_e32 v31, v137                                    // 00000000E138: 7E3E0389
	ds_write_b128 v16, v[28:31] offset:5280                    // 00000000E13C: D9BE14A0 00001C10
	v_mov_b32_e32 v28, v138                                    // 00000000E144: 7E38038A
	v_mov_b32_e32 v29, v139                                    // 00000000E148: 7E3A038B
	v_mov_b32_e32 v30, v140                                    // 00000000E14C: 7E3C038C
	v_mov_b32_e32 v31, v141                                    // 00000000E150: 7E3E038D
	ds_write_b128 v16, v[28:31] offset:6336                    // 00000000E154: D9BE18C0 00001C10
	v_mov_b32_e32 v28, v142                                    // 00000000E15C: 7E38038E
	v_mov_b32_e32 v29, v143                                    // 00000000E160: 7E3A038F
	v_mov_b32_e32 v30, v144                                    // 00000000E164: 7E3C0390
	v_mov_b32_e32 v31, v145                                    // 00000000E168: 7E3E0391
	ds_write_b128 v16, v[28:31] offset:7392                    // 00000000E16C: D9BE1CE0 00001C10
	s_waitcnt lgkmcnt(4)                                       // 00000000E174: BF8CC47F
	ds_read_b128 v[50:53], v3                                  // 00000000E178: D9FE0000 32000003
	ds_read_b128 v[54:57], v3 offset:32                        // 00000000E180: D9FE0020 36000003
	ds_read_b128 v[58:61], v3 offset:64                        // 00000000E188: D9FE0040 3A000003
	ds_read_b128 v[62:65], v3 offset:96                        // 00000000E190: D9FE0060 3E000003
	s_waitcnt lgkmcnt(4)                                       // 00000000E198: BF8CC47F
	ds_read_b128 v[66:69], v3 offset:128                       // 00000000E19C: D9FE0080 42000003
	ds_read_b128 v[70:73], v3 offset:160                       // 00000000E1A4: D9FE00A0 46000003
	ds_read_b128 v[74:77], v3 offset:192                       // 00000000E1AC: D9FE00C0 4A000003
	ds_read_b128 v[78:81], v3 offset:224                       // 00000000E1B4: D9FE00E0 4E000003
	s_waitcnt lgkmcnt(0)                                       // 00000000E1BC: BF8CC07F
	v_mov_b32_e32 v5, v2                                       // 00000000E1C0: 7E0A0302
	buffer_store_dwordx4 v[50:53], v5, s[8:11], 0 offen offset:1024// 00000000E1C4: E07C1400 80023205
	v_add_u32_e32 v5, 0x1000, v5                               // 00000000E1CC: 680A0AFF 00001000
	buffer_store_dwordx4 v[54:57], v5, s[8:11], 0 offen offset:1024// 00000000E1D4: E07C1400 80023605
	v_add_u32_e32 v5, 0x1000, v5                               // 00000000E1DC: 680A0AFF 00001000
	buffer_store_dwordx4 v[58:61], v5, s[8:11], 0 offen offset:1024// 00000000E1E4: E07C1400 80023A05
	v_add_u32_e32 v5, 0x1000, v5                               // 00000000E1EC: 680A0AFF 00001000
	buffer_store_dwordx4 v[62:65], v5, s[8:11], 0 offen offset:1024// 00000000E1F4: E07C1400 80023E05
	v_add_u32_e32 v5, 0x1000, v5                               // 00000000E1FC: 680A0AFF 00001000
	buffer_store_dwordx4 v[66:69], v5, s[8:11], 0 offen offset:1024// 00000000E204: E07C1400 80024205
	v_add_u32_e32 v5, 0x1000, v5                               // 00000000E20C: 680A0AFF 00001000
	buffer_store_dwordx4 v[70:73], v5, s[8:11], 0 offen offset:1024// 00000000E214: E07C1400 80024605
	v_add_u32_e32 v5, 0x1000, v5                               // 00000000E21C: 680A0AFF 00001000
	buffer_store_dwordx4 v[74:77], v5, s[8:11], 0 offen offset:1024// 00000000E224: E07C1400 80024A05
	v_add_u32_e32 v5, 0x1000, v5                               // 00000000E22C: 680A0AFF 00001000
	buffer_store_dwordx4 v[78:81], v5, s[8:11], 0 offen offset:1024// 00000000E234: E07C1400 80024E05
	v_add_u32_e32 v5, 0x1000, v5                               // 00000000E23C: 680A0AFF 00001000
	v_mov_b32_e32 v28, v146                                    // 00000000E244: 7E380392
	v_mov_b32_e32 v29, v147                                    // 00000000E248: 7E3A0393
	v_mov_b32_e32 v30, v148                                    // 00000000E24C: 7E3C0394
	v_mov_b32_e32 v31, v149                                    // 00000000E250: 7E3E0395
	ds_write_b128 v16, v[28:31]                                // 00000000E254: D9BE0000 00001C10
	v_mov_b32_e32 v28, v150                                    // 00000000E25C: 7E380396
	v_mov_b32_e32 v29, v151                                    // 00000000E260: 7E3A0397
	v_mov_b32_e32 v30, v152                                    // 00000000E264: 7E3C0398
	v_mov_b32_e32 v31, v153                                    // 00000000E268: 7E3E0399
	ds_write_b128 v16, v[28:31] offset:1056                    // 00000000E26C: D9BE0420 00001C10
	v_mov_b32_e32 v28, v154                                    // 00000000E274: 7E38039A
	v_mov_b32_e32 v29, v155                                    // 00000000E278: 7E3A039B
	v_mov_b32_e32 v30, v156                                    // 00000000E27C: 7E3C039C
	v_mov_b32_e32 v31, v157                                    // 00000000E280: 7E3E039D
	ds_write_b128 v16, v[28:31] offset:2112                    // 00000000E284: D9BE0840 00001C10
	v_mov_b32_e32 v28, v158                                    // 00000000E28C: 7E38039E
	v_mov_b32_e32 v29, v159                                    // 00000000E290: 7E3A039F
	v_mov_b32_e32 v30, v160                                    // 00000000E294: 7E3C03A0
	v_mov_b32_e32 v31, v161                                    // 00000000E298: 7E3E03A1
	ds_write_b128 v16, v[28:31] offset:3168                    // 00000000E29C: D9BE0C60 00001C10
	v_mov_b32_e32 v28, v162                                    // 00000000E2A4: 7E3803A2
	v_mov_b32_e32 v29, v163                                    // 00000000E2A8: 7E3A03A3
	v_mov_b32_e32 v30, v164                                    // 00000000E2AC: 7E3C03A4
	v_mov_b32_e32 v31, v165                                    // 00000000E2B0: 7E3E03A5
	ds_write_b128 v16, v[28:31] offset:4224                    // 00000000E2B4: D9BE1080 00001C10
	v_mov_b32_e32 v28, v166                                    // 00000000E2BC: 7E3803A6
	v_mov_b32_e32 v29, v167                                    // 00000000E2C0: 7E3A03A7
	v_mov_b32_e32 v30, v168                                    // 00000000E2C4: 7E3C03A8
	v_mov_b32_e32 v31, v169                                    // 00000000E2C8: 7E3E03A9
	ds_write_b128 v16, v[28:31] offset:5280                    // 00000000E2CC: D9BE14A0 00001C10
	v_mov_b32_e32 v28, v170                                    // 00000000E2D4: 7E3803AA
	v_mov_b32_e32 v29, v171                                    // 00000000E2D8: 7E3A03AB
	v_mov_b32_e32 v30, v172                                    // 00000000E2DC: 7E3C03AC
	v_mov_b32_e32 v31, v173                                    // 00000000E2E0: 7E3E03AD
	ds_write_b128 v16, v[28:31] offset:6336                    // 00000000E2E4: D9BE18C0 00001C10
	v_mov_b32_e32 v28, v174                                    // 00000000E2EC: 7E3803AE
	v_mov_b32_e32 v29, v175                                    // 00000000E2F0: 7E3A03AF
	v_mov_b32_e32 v30, v176                                    // 00000000E2F4: 7E3C03B0
	v_mov_b32_e32 v31, v177                                    // 00000000E2F8: 7E3E03B1
	ds_write_b128 v16, v[28:31] offset:7392                    // 00000000E2FC: D9BE1CE0 00001C10
	s_waitcnt lgkmcnt(4)                                       // 00000000E304: BF8CC47F
	ds_read_b128 v[50:53], v3                                  // 00000000E308: D9FE0000 32000003
	ds_read_b128 v[54:57], v3 offset:32                        // 00000000E310: D9FE0020 36000003
	ds_read_b128 v[58:61], v3 offset:64                        // 00000000E318: D9FE0040 3A000003
	ds_read_b128 v[62:65], v3 offset:96                        // 00000000E320: D9FE0060 3E000003
	s_waitcnt lgkmcnt(4)                                       // 00000000E328: BF8CC47F
	ds_read_b128 v[66:69], v3 offset:128                       // 00000000E32C: D9FE0080 42000003
	ds_read_b128 v[70:73], v3 offset:160                       // 00000000E334: D9FE00A0 46000003
	ds_read_b128 v[74:77], v3 offset:192                       // 00000000E33C: D9FE00C0 4A000003
	ds_read_b128 v[78:81], v3 offset:224                       // 00000000E344: D9FE00E0 4E000003
	s_waitcnt lgkmcnt(0)                                       // 00000000E34C: BF8CC07F
	v_mov_b32_e32 v5, v2                                       // 00000000E350: 7E0A0302
	buffer_store_dwordx4 v[50:53], v5, s[8:11], 0 offen offset:1536// 00000000E354: E07C1600 80023205
	v_add_u32_e32 v5, 0x1000, v5                               // 00000000E35C: 680A0AFF 00001000
	buffer_store_dwordx4 v[54:57], v5, s[8:11], 0 offen offset:1536// 00000000E364: E07C1600 80023605
	v_add_u32_e32 v5, 0x1000, v5                               // 00000000E36C: 680A0AFF 00001000
	buffer_store_dwordx4 v[58:61], v5, s[8:11], 0 offen offset:1536// 00000000E374: E07C1600 80023A05
	v_add_u32_e32 v5, 0x1000, v5                               // 00000000E37C: 680A0AFF 00001000
	buffer_store_dwordx4 v[62:65], v5, s[8:11], 0 offen offset:1536// 00000000E384: E07C1600 80023E05
	v_add_u32_e32 v5, 0x1000, v5                               // 00000000E38C: 680A0AFF 00001000
	buffer_store_dwordx4 v[66:69], v5, s[8:11], 0 offen offset:1536// 00000000E394: E07C1600 80024205
	v_add_u32_e32 v5, 0x1000, v5                               // 00000000E39C: 680A0AFF 00001000
	buffer_store_dwordx4 v[70:73], v5, s[8:11], 0 offen offset:1536// 00000000E3A4: E07C1600 80024605
	v_add_u32_e32 v5, 0x1000, v5                               // 00000000E3AC: 680A0AFF 00001000
	buffer_store_dwordx4 v[74:77], v5, s[8:11], 0 offen offset:1536// 00000000E3B4: E07C1600 80024A05
	v_add_u32_e32 v5, 0x1000, v5                               // 00000000E3BC: 680A0AFF 00001000
	buffer_store_dwordx4 v[78:81], v5, s[8:11], 0 offen offset:1536// 00000000E3C4: E07C1600 80024E05
	v_add_u32_e32 v5, 0x1000, v5                               // 00000000E3CC: 680A0AFF 00001000
	buffer_store_dword v1, v4, s[12:15], 0 offen               // 00000000E3D4: E0701000 80030104
	s_branch label_C7C4                                        // 00000000E3DC: BF8201B7

000000000000e3e0 <label_C0E8>:
	s_mul_i32 s75, 0x400, s92                                  // 00000000E3E0: 924B5CFF 00000400
	s_mul_i32 s56, s75, s79                                    // 00000000E3E8: 92384F4B
	s_add_u32 s88, s56, s88                                    // 00000000E3EC: 80585838
	s_addc_u32 s89, 0, s89                                     // 00000000E3F0: 82595980
	s_mul_i32 s56, s75, s81                                    // 00000000E3F4: 9238514B
	s_mov_b32 s90, s56                                         // 00000000E3F8: BEDA0038
	s_mul_i32 s57, 4, s92                                      // 00000000E3FC: 92395C84
	s_mul_i32 s56, s79, s57                                    // 00000000E400: 9238394F
	s_add_u32 s96, s56, s96                                    // 00000000E404: 80606038
	s_addc_u32 s97, 0, s97                                     // 00000000E408: 82616180
	v_and_b32_e32 v4, 15, v0                                   // 00000000E40C: 2608008F
	v_lshlrev_b32_e32 v4, 2, v4                                // 00000000E410: 24080882
	s_mul_i32 s56, 64, s7                                      // 00000000E414: 923807C0
	v_add_u32_e64 v4, v4, s56                                  // 00000000E418: D1340004 00007104
	v_lshlrev_b32_e32 v2, 3, v0                                // 00000000E420: 24040083
	s_mov_b32 s56, 0x5000                                      // 00000000E424: BEB800FF 00005000
	s_mul_i32 s56, s7, s56                                     // 00000000E42C: 92383807
	v_add_u32_e32 v2, s56, v2                                  // 00000000E430: 68040438
	v_cvt_pk_bf16_f32 v50, v50, v51                            // 00000000E434: D2680032 00026732
	v_cvt_pk_bf16_f32 v51, v52, v53                            // 00000000E43C: D2680033 00026B34
	v_cvt_pk_bf16_f32 v52, v54, v55                            // 00000000E444: D2680034 00026F36
	v_cvt_pk_bf16_f32 v53, v56, v57                            // 00000000E44C: D2680035 00027338
	v_cvt_pk_bf16_f32 v54, v58, v59                            // 00000000E454: D2680036 0002773A
	v_cvt_pk_bf16_f32 v55, v60, v61                            // 00000000E45C: D2680037 00027B3C
	v_cvt_pk_bf16_f32 v56, v62, v63                            // 00000000E464: D2680038 00027F3E
	v_cvt_pk_bf16_f32 v57, v64, v65                            // 00000000E46C: D2680039 00028340
	v_cvt_pk_bf16_f32 v58, v66, v67                            // 00000000E474: D268003A 00028742
	v_cvt_pk_bf16_f32 v59, v68, v69                            // 00000000E47C: D268003B 00028B44
	v_cvt_pk_bf16_f32 v60, v70, v71                            // 00000000E484: D268003C 00028F46
	v_cvt_pk_bf16_f32 v61, v72, v73                            // 00000000E48C: D268003D 00029348
	v_cvt_pk_bf16_f32 v62, v74, v75                            // 00000000E494: D268003E 0002974A
	v_cvt_pk_bf16_f32 v63, v76, v77                            // 00000000E49C: D268003F 00029B4C
	v_cvt_pk_bf16_f32 v64, v78, v79                            // 00000000E4A4: D2680040 00029F4E
	v_cvt_pk_bf16_f32 v65, v80, v81                            // 00000000E4AC: D2680041 0002A350
	ds_write_b64 v2, v[50:51]                                  // 00000000E4B4: D89A0000 00003202
	v_add_u32_e32 v2, 0x208, v2                                // 00000000E4BC: 680404FF 00000208
	ds_write_b64 v2, v[52:53]                                  // 00000000E4C4: D89A0000 00003402
	v_add_u32_e32 v2, 0x208, v2                                // 00000000E4CC: 680404FF 00000208
	ds_write_b64 v2, v[54:55]                                  // 00000000E4D4: D89A0000 00003602
	v_add_u32_e32 v2, 0x208, v2                                // 00000000E4DC: 680404FF 00000208
	ds_write_b64 v2, v[56:57]                                  // 00000000E4E4: D89A0000 00003802
	v_add_u32_e32 v2, 0x208, v2                                // 00000000E4EC: 680404FF 00000208
	ds_write_b64 v2, v[58:59]                                  // 00000000E4F4: D89A0000 00003A02
	v_add_u32_e32 v2, 0x208, v2                                // 00000000E4FC: 680404FF 00000208
	ds_write_b64 v2, v[60:61]                                  // 00000000E504: D89A0000 00003C02
	v_add_u32_e32 v2, 0x208, v2                                // 00000000E50C: 680404FF 00000208
	ds_write_b64 v2, v[62:63]                                  // 00000000E514: D89A0000 00003E02
	v_add_u32_e32 v2, 0x208, v2                                // 00000000E51C: 680404FF 00000208
	ds_write_b64 v2, v[64:65]                                  // 00000000E524: D89A0000 00004002
	v_add_u32_e32 v2, 0x208, v2                                // 00000000E52C: 680404FF 00000208
	v_cvt_pk_bf16_f32 v50, v82, v83                            // 00000000E534: D2680032 0002A752
	v_cvt_pk_bf16_f32 v51, v84, v85                            // 00000000E53C: D2680033 0002AB54
	v_cvt_pk_bf16_f32 v52, v86, v87                            // 00000000E544: D2680034 0002AF56
	v_cvt_pk_bf16_f32 v53, v88, v89                            // 00000000E54C: D2680035 0002B358
	v_cvt_pk_bf16_f32 v54, v90, v91                            // 00000000E554: D2680036 0002B75A
	v_cvt_pk_bf16_f32 v55, v92, v93                            // 00000000E55C: D2680037 0002BB5C
	v_cvt_pk_bf16_f32 v56, v94, v95                            // 00000000E564: D2680038 0002BF5E
	v_cvt_pk_bf16_f32 v57, v96, v97                            // 00000000E56C: D2680039 0002C360
	v_cvt_pk_bf16_f32 v58, v98, v99                            // 00000000E574: D268003A 0002C762
	v_cvt_pk_bf16_f32 v59, v100, v101                          // 00000000E57C: D268003B 0002CB64
	v_cvt_pk_bf16_f32 v60, v102, v103                          // 00000000E584: D268003C 0002CF66
	v_cvt_pk_bf16_f32 v61, v104, v105                          // 00000000E58C: D268003D 0002D368
	v_cvt_pk_bf16_f32 v62, v106, v107                          // 00000000E594: D268003E 0002D76A
	v_cvt_pk_bf16_f32 v63, v108, v109                          // 00000000E59C: D268003F 0002DB6C
	v_cvt_pk_bf16_f32 v64, v110, v111                          // 00000000E5A4: D2680040 0002DF6E
	v_cvt_pk_bf16_f32 v65, v112, v113                          // 00000000E5AC: D2680041 0002E370
	ds_write_b64 v2, v[50:51]                                  // 00000000E5B4: D89A0000 00003202
	v_add_u32_e32 v2, 0x208, v2                                // 00000000E5BC: 680404FF 00000208
	ds_write_b64 v2, v[52:53]                                  // 00000000E5C4: D89A0000 00003402
	v_add_u32_e32 v2, 0x208, v2                                // 00000000E5CC: 680404FF 00000208
	ds_write_b64 v2, v[54:55]                                  // 00000000E5D4: D89A0000 00003602
	v_add_u32_e32 v2, 0x208, v2                                // 00000000E5DC: 680404FF 00000208
	ds_write_b64 v2, v[56:57]                                  // 00000000E5E4: D89A0000 00003802
	v_add_u32_e32 v2, 0x208, v2                                // 00000000E5EC: 680404FF 00000208
	ds_write_b64 v2, v[58:59]                                  // 00000000E5F4: D89A0000 00003A02
	v_add_u32_e32 v2, 0x208, v2                                // 00000000E5FC: 680404FF 00000208
	ds_write_b64 v2, v[60:61]                                  // 00000000E604: D89A0000 00003C02
	v_add_u32_e32 v2, 0x208, v2                                // 00000000E60C: 680404FF 00000208
	ds_write_b64 v2, v[62:63]                                  // 00000000E614: D89A0000 00003E02
	v_add_u32_e32 v2, 0x208, v2                                // 00000000E61C: 680404FF 00000208
	ds_write_b64 v2, v[64:65]                                  // 00000000E624: D89A0000 00004002
	v_add_u32_e32 v2, 0x208, v2                                // 00000000E62C: 680404FF 00000208
	v_cvt_pk_bf16_f32 v50, v114, v115                          // 00000000E634: D2680032 0002E772
	v_cvt_pk_bf16_f32 v51, v116, v117                          // 00000000E63C: D2680033 0002EB74
	v_cvt_pk_bf16_f32 v52, v118, v119                          // 00000000E644: D2680034 0002EF76
	v_cvt_pk_bf16_f32 v53, v120, v121                          // 00000000E64C: D2680035 0002F378
	v_cvt_pk_bf16_f32 v54, v122, v123                          // 00000000E654: D2680036 0002F77A
	v_cvt_pk_bf16_f32 v55, v124, v125                          // 00000000E65C: D2680037 0002FB7C
	v_cvt_pk_bf16_f32 v56, v126, v127                          // 00000000E664: D2680038 0002FF7E
	v_cvt_pk_bf16_f32 v57, v128, v129                          // 00000000E66C: D2680039 00030380
	v_cvt_pk_bf16_f32 v58, v130, v131                          // 00000000E674: D268003A 00030782
	v_cvt_pk_bf16_f32 v59, v132, v133                          // 00000000E67C: D268003B 00030B84
	v_cvt_pk_bf16_f32 v60, v134, v135                          // 00000000E684: D268003C 00030F86
	v_cvt_pk_bf16_f32 v61, v136, v137                          // 00000000E68C: D268003D 00031388
	v_cvt_pk_bf16_f32 v62, v138, v139                          // 00000000E694: D268003E 0003178A
	v_cvt_pk_bf16_f32 v63, v140, v141                          // 00000000E69C: D268003F 00031B8C
	v_cvt_pk_bf16_f32 v64, v142, v143                          // 00000000E6A4: D2680040 00031F8E
	v_cvt_pk_bf16_f32 v65, v144, v145                          // 00000000E6AC: D2680041 00032390
	ds_write_b64 v2, v[50:51]                                  // 00000000E6B4: D89A0000 00003202
	v_add_u32_e32 v2, 0x208, v2                                // 00000000E6BC: 680404FF 00000208
	ds_write_b64 v2, v[52:53]                                  // 00000000E6C4: D89A0000 00003402
	v_add_u32_e32 v2, 0x208, v2                                // 00000000E6CC: 680404FF 00000208
	ds_write_b64 v2, v[54:55]                                  // 00000000E6D4: D89A0000 00003602
	v_add_u32_e32 v2, 0x208, v2                                // 00000000E6DC: 680404FF 00000208
	ds_write_b64 v2, v[56:57]                                  // 00000000E6E4: D89A0000 00003802
	v_add_u32_e32 v2, 0x208, v2                                // 00000000E6EC: 680404FF 00000208
	ds_write_b64 v2, v[58:59]                                  // 00000000E6F4: D89A0000 00003A02
	v_add_u32_e32 v2, 0x208, v2                                // 00000000E6FC: 680404FF 00000208
	ds_write_b64 v2, v[60:61]                                  // 00000000E704: D89A0000 00003C02
	v_add_u32_e32 v2, 0x208, v2                                // 00000000E70C: 680404FF 00000208
	ds_write_b64 v2, v[62:63]                                  // 00000000E714: D89A0000 00003E02
	v_add_u32_e32 v2, 0x208, v2                                // 00000000E71C: 680404FF 00000208
	ds_write_b64 v2, v[64:65]                                  // 00000000E724: D89A0000 00004002
	v_add_u32_e32 v2, 0x208, v2                                // 00000000E72C: 680404FF 00000208
	v_cvt_pk_bf16_f32 v50, v146, v147                          // 00000000E734: D2680032 00032792
	v_cvt_pk_bf16_f32 v51, v148, v149                          // 00000000E73C: D2680033 00032B94
	v_cvt_pk_bf16_f32 v52, v150, v151                          // 00000000E744: D2680034 00032F96
	v_cvt_pk_bf16_f32 v53, v152, v153                          // 00000000E74C: D2680035 00033398
	v_cvt_pk_bf16_f32 v54, v154, v155                          // 00000000E754: D2680036 0003379A
	v_cvt_pk_bf16_f32 v55, v156, v157                          // 00000000E75C: D2680037 00033B9C
	v_cvt_pk_bf16_f32 v56, v158, v159                          // 00000000E764: D2680038 00033F9E
	v_cvt_pk_bf16_f32 v57, v160, v161                          // 00000000E76C: D2680039 000343A0
	v_cvt_pk_bf16_f32 v58, v162, v163                          // 00000000E774: D268003A 000347A2
	v_cvt_pk_bf16_f32 v59, v164, v165                          // 00000000E77C: D268003B 00034BA4
	v_cvt_pk_bf16_f32 v60, v166, v167                          // 00000000E784: D268003C 00034FA6
	v_cvt_pk_bf16_f32 v61, v168, v169                          // 00000000E78C: D268003D 000353A8
	v_cvt_pk_bf16_f32 v62, v170, v171                          // 00000000E794: D268003E 000357AA
	v_cvt_pk_bf16_f32 v63, v172, v173                          // 00000000E79C: D268003F 00035BAC
	v_cvt_pk_bf16_f32 v64, v174, v175                          // 00000000E7A4: D2680040 00035FAE
	v_cvt_pk_bf16_f32 v65, v176, v177                          // 00000000E7AC: D2680041 000363B0
	ds_write_b64 v2, v[50:51]                                  // 00000000E7B4: D89A0000 00003202
	v_add_u32_e32 v2, 0x208, v2                                // 00000000E7BC: 680404FF 00000208
	ds_write_b64 v2, v[52:53]                                  // 00000000E7C4: D89A0000 00003402
	v_add_u32_e32 v2, 0x208, v2                                // 00000000E7CC: 680404FF 00000208
	ds_write_b64 v2, v[54:55]                                  // 00000000E7D4: D89A0000 00003602
	v_add_u32_e32 v2, 0x208, v2                                // 00000000E7DC: 680404FF 00000208
	ds_write_b64 v2, v[56:57]                                  // 00000000E7E4: D89A0000 00003802
	v_add_u32_e32 v2, 0x208, v2                                // 00000000E7EC: 680404FF 00000208
	ds_write_b64 v2, v[58:59]                                  // 00000000E7F4: D89A0000 00003A02
	v_add_u32_e32 v2, 0x208, v2                                // 00000000E7FC: 680404FF 00000208
	ds_write_b64 v2, v[60:61]                                  // 00000000E804: D89A0000 00003C02
	v_add_u32_e32 v2, 0x208, v2                                // 00000000E80C: 680404FF 00000208
	ds_write_b64 v2, v[62:63]                                  // 00000000E814: D89A0000 00003E02
	v_add_u32_e32 v2, 0x208, v2                                // 00000000E81C: 680404FF 00000208
	ds_write_b64 v2, v[64:65]                                  // 00000000E824: D89A0000 00004002
	v_add_u32_e32 v2, 0x208, v2                                // 00000000E82C: 680404FF 00000208
	v_mul_i32_i24_e32 v2, 0x100, v0                            // 00000000E834: 0C0400FF 00000100
	v_lshrrev_b32_e32 v28, 1, v0                               // 00000000E83C: 20380081
	v_lshlrev_b32_e32 v28, 3, v28                              // 00000000E840: 24383883
	v_add_u32_e32 v2, v2, v28                                  // 00000000E844: 68043902
	v_add_u32_e32 v3, 0x80, v2                                 // 00000000E848: 680604FF 00000080
	s_mul_i32 s56, 0x5000, s7                                  // 00000000E850: 923807FF 00005000
	v_add_u32_e32 v2, s56, v2                                  // 00000000E858: 68040438
	v_add_u32_e32 v3, s56, v3                                  // 00000000E85C: 68060638
	s_mul_i32 s56, 0x4000, s7                                  // 00000000E860: 923807FF 00004000
	v_lshlrev_b32_e32 v5, 4, v0                                // 00000000E868: 240A0084
	v_add_u32_e32 v5, s56, v5                                  // 00000000E86C: 680A0A38
	s_waitcnt lgkmcnt(0)                                       // 00000000E870: BF8CC07F
	ds_read_b64 v[50:51], v2                                   // 00000000E874: D8EC0000 32000002
	ds_read_b64 v[52:53], v3                                   // 00000000E87C: D8EC0000 34000003
	ds_read_b64 v[54:55], v2 offset:8                          // 00000000E884: D8EC0008 36000002
	ds_read_b64 v[56:57], v3 offset:8                          // 00000000E88C: D8EC0008 38000003
	s_waitcnt lgkmcnt(2)                                       // 00000000E894: BF8CC27F
	buffer_store_dwordx4 v[50:53], v5, s[88:91], 0 offen       // 00000000E898: E07C1000 80163205
	v_add_u32_e32 v5, 0x400, v5                                // 00000000E8A0: 680A0AFF 00000400
	ds_read_b64 v[58:59], v2 offset:16                         // 00000000E8A8: D8EC0010 3A000002
	ds_read_b64 v[60:61], v3 offset:16                         // 00000000E8B0: D8EC0010 3C000003
	s_waitcnt lgkmcnt(2)                                       // 00000000E8B8: BF8CC27F
	buffer_store_dwordx4 v[54:57], v5, s[88:91], 0 offen       // 00000000E8BC: E07C1000 80163605
	v_add_u32_e32 v5, 0x400, v5                                // 00000000E8C4: 680A0AFF 00000400
	ds_read_b64 v[62:63], v2 offset:24                         // 00000000E8CC: D8EC0018 3E000002
	ds_read_b64 v[64:65], v3 offset:24                         // 00000000E8D4: D8EC0018 40000003
	s_waitcnt lgkmcnt(2)                                       // 00000000E8DC: BF8CC27F
	buffer_store_dwordx4 v[58:61], v5, s[88:91], 0 offen       // 00000000E8E0: E07C1000 80163A05
	v_add_u32_e32 v5, 0x400, v5                                // 00000000E8E8: 680A0AFF 00000400
	s_waitcnt lgkmcnt(0)                                       // 00000000E8F0: BF8CC07F
	buffer_store_dwordx4 v[62:65], v5, s[88:91], 0 offen       // 00000000E8F4: E07C1000 80163E05
	v_add_u32_e32 v5, 0x400, v5                                // 00000000E8FC: 680A0AFF 00000400
	ds_read_b64 v[66:67], v2 offset:32                         // 00000000E904: D8EC0020 42000002
	ds_read_b64 v[68:69], v3 offset:32                         // 00000000E90C: D8EC0020 44000003
	ds_read_b64 v[70:71], v2 offset:40                         // 00000000E914: D8EC0028 46000002
	ds_read_b64 v[72:73], v3 offset:40                         // 00000000E91C: D8EC0028 48000003
	s_waitcnt lgkmcnt(2)                                       // 00000000E924: BF8CC27F
	buffer_store_dwordx4 v[66:69], v5, s[88:91], 0 offen       // 00000000E928: E07C1000 80164205
	v_add_u32_e32 v5, 0x400, v5                                // 00000000E930: 680A0AFF 00000400
	ds_read_b64 v[74:75], v2 offset:48                         // 00000000E938: D8EC0030 4A000002
	ds_read_b64 v[76:77], v3 offset:48                         // 00000000E940: D8EC0030 4C000003
	s_waitcnt lgkmcnt(2)                                       // 00000000E948: BF8CC27F
	buffer_store_dwordx4 v[70:73], v5, s[88:91], 0 offen       // 00000000E94C: E07C1000 80164605
	v_add_u32_e32 v5, 0x400, v5                                // 00000000E954: 680A0AFF 00000400
	ds_read_b64 v[78:79], v2 offset:56                         // 00000000E95C: D8EC0038 4E000002
	ds_read_b64 v[80:81], v3 offset:56                         // 00000000E964: D8EC0038 50000003
	s_waitcnt lgkmcnt(2)                                       // 00000000E96C: BF8CC27F
	buffer_store_dwordx4 v[74:77], v5, s[88:91], 0 offen       // 00000000E970: E07C1000 80164A05
	v_add_u32_e32 v5, 0x400, v5                                // 00000000E978: 680A0AFF 00000400
	s_waitcnt lgkmcnt(0)                                       // 00000000E980: BF8CC07F
	buffer_store_dwordx4 v[78:81], v5, s[88:91], 0 offen       // 00000000E984: E07C1000 80164E05
	v_add_u32_e32 v5, 0x400, v5                                // 00000000E98C: 680A0AFF 00000400
	ds_read_b64 v[82:83], v2 offset:64                         // 00000000E994: D8EC0040 52000002
	ds_read_b64 v[84:85], v3 offset:64                         // 00000000E99C: D8EC0040 54000003
	ds_read_b64 v[86:87], v2 offset:72                         // 00000000E9A4: D8EC0048 56000002
	ds_read_b64 v[88:89], v3 offset:72                         // 00000000E9AC: D8EC0048 58000003
	s_waitcnt lgkmcnt(2)                                       // 00000000E9B4: BF8CC27F
	buffer_store_dwordx4 v[82:85], v5, s[88:91], 0 offen       // 00000000E9B8: E07C1000 80165205
	v_add_u32_e32 v5, 0x400, v5                                // 00000000E9C0: 680A0AFF 00000400
	ds_read_b64 v[90:91], v2 offset:80                         // 00000000E9C8: D8EC0050 5A000002
	ds_read_b64 v[92:93], v3 offset:80                         // 00000000E9D0: D8EC0050 5C000003
	s_waitcnt lgkmcnt(2)                                       // 00000000E9D8: BF8CC27F
	buffer_store_dwordx4 v[86:89], v5, s[88:91], 0 offen       // 00000000E9DC: E07C1000 80165605
	v_add_u32_e32 v5, 0x400, v5                                // 00000000E9E4: 680A0AFF 00000400
	ds_read_b64 v[94:95], v2 offset:88                         // 00000000E9EC: D8EC0058 5E000002
	ds_read_b64 v[96:97], v3 offset:88                         // 00000000E9F4: D8EC0058 60000003
	s_waitcnt lgkmcnt(2)                                       // 00000000E9FC: BF8CC27F
	buffer_store_dwordx4 v[90:93], v5, s[88:91], 0 offen       // 00000000EA00: E07C1000 80165A05
	v_add_u32_e32 v5, 0x400, v5                                // 00000000EA08: 680A0AFF 00000400
	s_waitcnt lgkmcnt(0)                                       // 00000000EA10: BF8CC07F
	buffer_store_dwordx4 v[94:97], v5, s[88:91], 0 offen       // 00000000EA14: E07C1000 80165E05
	v_add_u32_e32 v5, 0x400, v5                                // 00000000EA1C: 680A0AFF 00000400
	ds_read_b64 v[98:99], v2 offset:96                         // 00000000EA24: D8EC0060 62000002
	ds_read_b64 v[100:101], v3 offset:96                       // 00000000EA2C: D8EC0060 64000003
	ds_read_b64 v[102:103], v2 offset:104                      // 00000000EA34: D8EC0068 66000002
	ds_read_b64 v[104:105], v3 offset:104                      // 00000000EA3C: D8EC0068 68000003
	s_waitcnt lgkmcnt(2)                                       // 00000000EA44: BF8CC27F
	buffer_store_dwordx4 v[98:101], v5, s[88:91], 0 offen      // 00000000EA48: E07C1000 80166205
	v_add_u32_e32 v5, 0x400, v5                                // 00000000EA50: 680A0AFF 00000400
	ds_read_b64 v[106:107], v2 offset:112                      // 00000000EA58: D8EC0070 6A000002
	ds_read_b64 v[108:109], v3 offset:112                      // 00000000EA60: D8EC0070 6C000003
	s_waitcnt lgkmcnt(2)                                       // 00000000EA68: BF8CC27F
	buffer_store_dwordx4 v[102:105], v5, s[88:91], 0 offen     // 00000000EA6C: E07C1000 80166605
	v_add_u32_e32 v5, 0x400, v5                                // 00000000EA74: 680A0AFF 00000400
	ds_read_b64 v[110:111], v2 offset:120                      // 00000000EA7C: D8EC0078 6E000002
	ds_read_b64 v[112:113], v3 offset:120                      // 00000000EA84: D8EC0078 70000003
	s_waitcnt lgkmcnt(2)                                       // 00000000EA8C: BF8CC27F
	buffer_store_dwordx4 v[106:109], v5, s[88:91], 0 offen     // 00000000EA90: E07C1000 80166A05
	v_add_u32_e32 v5, 0x400, v5                                // 00000000EA98: 680A0AFF 00000400
	s_waitcnt lgkmcnt(0)                                       // 00000000EAA0: BF8CC07F
	buffer_store_dwordx4 v[110:113], v5, s[88:91], 0 offen     // 00000000EAA4: E07C1000 80166E05
	v_add_u32_e32 v5, 0x400, v5                                // 00000000EAAC: 680A0AFF 00000400
	buffer_store_dword v1, v4, s[96:99], 0 offen               // 00000000EAB4: E0701000 80180104

000000000000eabc <label_C7C4>:
	s_mov_b32 s56, 32                                          // 00000000EABC: BEB800A0
	s_addk_i32 s85, 0x1                                        // 00000000EAC0: B7550001
	s_cmp_lt_i32 s85, s86                                      // 00000000EAC4: BF045655
	s_cbranch_scc1 label_00A4                                  // 00000000EAC8: BF85CEB6

000000000000eacc <label_C7D4>:
	s_waitcnt vmcnt(0) expcnt(0) lgkmcnt(0)                    // 00000000EACC: BF8C0000
	s_endpgm                                                   // 00000000EAD0: BF810000
